;; amdgpu-corpus repo=ROCm/rocFFT kind=compiled arch=gfx950 opt=O3
	.text
	.amdgcn_target "amdgcn-amd-amdhsa--gfx950"
	.amdhsa_code_object_version 6
	.protected	fft_rtc_back_len1870_factors_17_10_11_wgs_187_tpt_187_halfLds_dp_ip_CI_unitstride_sbrr_R2C_dirReg ; -- Begin function fft_rtc_back_len1870_factors_17_10_11_wgs_187_tpt_187_halfLds_dp_ip_CI_unitstride_sbrr_R2C_dirReg
	.globl	fft_rtc_back_len1870_factors_17_10_11_wgs_187_tpt_187_halfLds_dp_ip_CI_unitstride_sbrr_R2C_dirReg
	.p2align	8
	.type	fft_rtc_back_len1870_factors_17_10_11_wgs_187_tpt_187_halfLds_dp_ip_CI_unitstride_sbrr_R2C_dirReg,@function
fft_rtc_back_len1870_factors_17_10_11_wgs_187_tpt_187_halfLds_dp_ip_CI_unitstride_sbrr_R2C_dirReg: ; @fft_rtc_back_len1870_factors_17_10_11_wgs_187_tpt_187_halfLds_dp_ip_CI_unitstride_sbrr_R2C_dirReg
; %bb.0:
	s_load_dwordx2 s[8:9], s[0:1], 0x50
	s_load_dwordx4 s[4:7], s[0:1], 0x0
	s_load_dwordx2 s[10:11], s[0:1], 0x18
	v_mul_u32_u24_e32 v1, 0x15f, v0
	v_add_u32_sdwa v6, s2, v1 dst_sel:DWORD dst_unused:UNUSED_PAD src0_sel:DWORD src1_sel:WORD_1
	v_mov_b32_e32 v4, 0
	s_waitcnt lgkmcnt(0)
	v_cmp_lt_u64_e64 s[2:3], s[6:7], 2
	v_mov_b32_e32 v7, v4
	s_and_b64 vcc, exec, s[2:3]
	v_mov_b64_e32 v[2:3], 0
	s_cbranch_vccnz .LBB0_8
; %bb.1:
	s_load_dwordx2 s[2:3], s[0:1], 0x10
	s_add_u32 s12, s10, 8
	s_addc_u32 s13, s11, 0
	s_mov_b64 s[14:15], 1
	v_mov_b64_e32 v[2:3], 0
	s_waitcnt lgkmcnt(0)
	s_add_u32 s16, s2, 8
	s_addc_u32 s17, s3, 0
.LBB0_2:                                ; =>This Inner Loop Header: Depth=1
	s_load_dwordx2 s[18:19], s[16:17], 0x0
                                        ; implicit-def: $vgpr8_vgpr9
	s_waitcnt lgkmcnt(0)
	v_or_b32_e32 v5, s19, v7
	v_cmp_ne_u64_e32 vcc, 0, v[4:5]
	s_and_saveexec_b64 s[2:3], vcc
	s_xor_b64 s[20:21], exec, s[2:3]
	s_cbranch_execz .LBB0_4
; %bb.3:                                ;   in Loop: Header=BB0_2 Depth=1
	v_cvt_f32_u32_e32 v1, s18
	v_cvt_f32_u32_e32 v5, s19
	s_sub_u32 s2, 0, s18
	s_subb_u32 s3, 0, s19
	v_fmac_f32_e32 v1, 0x4f800000, v5
	v_rcp_f32_e32 v1, v1
	s_nop 0
	v_mul_f32_e32 v1, 0x5f7ffffc, v1
	v_mul_f32_e32 v5, 0x2f800000, v1
	v_trunc_f32_e32 v5, v5
	v_fmac_f32_e32 v1, 0xcf800000, v5
	v_cvt_u32_f32_e32 v5, v5
	v_cvt_u32_f32_e32 v1, v1
	v_mul_lo_u32 v8, s2, v5
	v_mul_hi_u32 v10, s2, v1
	v_mul_lo_u32 v9, s3, v1
	v_add_u32_e32 v10, v10, v8
	v_mul_lo_u32 v12, s2, v1
	v_add_u32_e32 v13, v10, v9
	v_mul_hi_u32 v8, v1, v12
	v_mul_hi_u32 v11, v1, v13
	v_mul_lo_u32 v10, v1, v13
	v_mov_b32_e32 v9, v4
	v_lshl_add_u64 v[8:9], v[8:9], 0, v[10:11]
	v_mul_hi_u32 v11, v5, v12
	v_mul_lo_u32 v12, v5, v12
	v_add_co_u32_e32 v8, vcc, v8, v12
	v_mul_hi_u32 v10, v5, v13
	s_nop 0
	v_addc_co_u32_e32 v8, vcc, v9, v11, vcc
	v_mov_b32_e32 v9, v4
	s_nop 0
	v_addc_co_u32_e32 v11, vcc, 0, v10, vcc
	v_mul_lo_u32 v10, v5, v13
	v_lshl_add_u64 v[8:9], v[8:9], 0, v[10:11]
	v_add_co_u32_e32 v1, vcc, v1, v8
	v_mul_lo_u32 v10, s2, v1
	s_nop 0
	v_addc_co_u32_e32 v5, vcc, v5, v9, vcc
	v_mul_lo_u32 v8, s2, v5
	v_mul_hi_u32 v9, s2, v1
	v_add_u32_e32 v8, v9, v8
	v_mul_lo_u32 v9, s3, v1
	v_add_u32_e32 v12, v8, v9
	v_mul_hi_u32 v14, v5, v10
	v_mul_lo_u32 v15, v5, v10
	v_mul_hi_u32 v9, v1, v12
	v_mul_lo_u32 v8, v1, v12
	v_mul_hi_u32 v10, v1, v10
	v_mov_b32_e32 v11, v4
	v_lshl_add_u64 v[8:9], v[10:11], 0, v[8:9]
	v_add_co_u32_e32 v8, vcc, v8, v15
	v_mul_hi_u32 v13, v5, v12
	s_nop 0
	v_addc_co_u32_e32 v8, vcc, v9, v14, vcc
	v_mul_lo_u32 v10, v5, v12
	s_nop 0
	v_addc_co_u32_e32 v11, vcc, 0, v13, vcc
	v_mov_b32_e32 v9, v4
	v_lshl_add_u64 v[8:9], v[8:9], 0, v[10:11]
	v_add_co_u32_e32 v1, vcc, v1, v8
	v_mul_hi_u32 v10, v6, v1
	s_nop 0
	v_addc_co_u32_e32 v5, vcc, v5, v9, vcc
	v_mad_u64_u32 v[8:9], s[2:3], v6, v5, 0
	v_mov_b32_e32 v11, v4
	v_lshl_add_u64 v[8:9], v[10:11], 0, v[8:9]
	v_mad_u64_u32 v[12:13], s[2:3], v7, v1, 0
	v_add_co_u32_e32 v1, vcc, v8, v12
	v_mad_u64_u32 v[10:11], s[2:3], v7, v5, 0
	s_nop 0
	v_addc_co_u32_e32 v8, vcc, v9, v13, vcc
	v_mov_b32_e32 v9, v4
	s_nop 0
	v_addc_co_u32_e32 v11, vcc, 0, v11, vcc
	v_lshl_add_u64 v[8:9], v[8:9], 0, v[10:11]
	v_mul_lo_u32 v1, s19, v8
	v_mul_lo_u32 v5, s18, v9
	v_mad_u64_u32 v[10:11], s[2:3], s18, v8, 0
	v_add3_u32 v1, v11, v5, v1
	v_sub_u32_e32 v5, v7, v1
	v_mov_b32_e32 v11, s19
	v_sub_co_u32_e32 v14, vcc, v6, v10
	v_lshl_add_u64 v[12:13], v[8:9], 0, 1
	s_nop 0
	v_subb_co_u32_e64 v5, s[2:3], v5, v11, vcc
	v_subrev_co_u32_e64 v10, s[2:3], s18, v14
	v_subb_co_u32_e32 v1, vcc, v7, v1, vcc
	s_nop 0
	v_subbrev_co_u32_e64 v5, s[2:3], 0, v5, s[2:3]
	v_cmp_le_u32_e64 s[2:3], s19, v5
	v_cmp_le_u32_e32 vcc, s19, v1
	s_nop 0
	v_cndmask_b32_e64 v11, 0, -1, s[2:3]
	v_cmp_le_u32_e64 s[2:3], s18, v10
	s_nop 1
	v_cndmask_b32_e64 v10, 0, -1, s[2:3]
	v_cmp_eq_u32_e64 s[2:3], s19, v5
	s_nop 1
	v_cndmask_b32_e64 v5, v11, v10, s[2:3]
	v_lshl_add_u64 v[10:11], v[8:9], 0, 2
	v_cmp_ne_u32_e64 s[2:3], 0, v5
	s_nop 1
	v_cndmask_b32_e64 v5, v13, v11, s[2:3]
	v_cndmask_b32_e64 v11, 0, -1, vcc
	v_cmp_le_u32_e32 vcc, s18, v14
	s_nop 1
	v_cndmask_b32_e64 v13, 0, -1, vcc
	v_cmp_eq_u32_e32 vcc, s19, v1
	s_nop 1
	v_cndmask_b32_e32 v1, v11, v13, vcc
	v_cmp_ne_u32_e32 vcc, 0, v1
	v_cndmask_b32_e64 v1, v12, v10, s[2:3]
	s_nop 0
	v_cndmask_b32_e32 v9, v9, v5, vcc
	v_cndmask_b32_e32 v8, v8, v1, vcc
.LBB0_4:                                ;   in Loop: Header=BB0_2 Depth=1
	s_andn2_saveexec_b64 s[2:3], s[20:21]
	s_cbranch_execz .LBB0_6
; %bb.5:                                ;   in Loop: Header=BB0_2 Depth=1
	v_cvt_f32_u32_e32 v1, s18
	s_sub_i32 s20, 0, s18
	v_rcp_iflag_f32_e32 v1, v1
	s_nop 0
	v_mul_f32_e32 v1, 0x4f7ffffe, v1
	v_cvt_u32_f32_e32 v1, v1
	v_mul_lo_u32 v5, s20, v1
	v_mul_hi_u32 v5, v1, v5
	v_add_u32_e32 v1, v1, v5
	v_mul_hi_u32 v1, v6, v1
	v_mul_lo_u32 v5, v1, s18
	v_sub_u32_e32 v5, v6, v5
	v_add_u32_e32 v8, 1, v1
	v_subrev_u32_e32 v9, s18, v5
	v_cmp_le_u32_e32 vcc, s18, v5
	s_nop 1
	v_cndmask_b32_e32 v5, v5, v9, vcc
	v_cndmask_b32_e32 v1, v1, v8, vcc
	v_add_u32_e32 v8, 1, v1
	v_cmp_le_u32_e32 vcc, s18, v5
	v_mov_b32_e32 v9, v4
	s_nop 0
	v_cndmask_b32_e32 v8, v1, v8, vcc
.LBB0_6:                                ;   in Loop: Header=BB0_2 Depth=1
	s_or_b64 exec, exec, s[2:3]
	v_mad_u64_u32 v[10:11], s[2:3], v8, s18, 0
	s_load_dwordx2 s[2:3], s[12:13], 0x0
	v_mul_lo_u32 v1, v9, s18
	v_mul_lo_u32 v5, v8, s19
	v_add3_u32 v1, v11, v5, v1
	v_sub_co_u32_e32 v5, vcc, v6, v10
	s_add_u32 s14, s14, 1
	s_nop 0
	v_subb_co_u32_e32 v1, vcc, v7, v1, vcc
	s_addc_u32 s15, s15, 0
	s_waitcnt lgkmcnt(0)
	v_mul_lo_u32 v1, s2, v1
	v_mul_lo_u32 v6, s3, v5
	v_mad_u64_u32 v[2:3], s[2:3], s2, v5, v[2:3]
	s_add_u32 s12, s12, 8
	v_add3_u32 v3, v6, v3, v1
	s_addc_u32 s13, s13, 0
	v_mov_b64_e32 v[6:7], s[6:7]
	s_add_u32 s16, s16, 8
	v_cmp_ge_u64_e32 vcc, s[14:15], v[6:7]
	s_addc_u32 s17, s17, 0
	s_cbranch_vccnz .LBB0_9
; %bb.7:                                ;   in Loop: Header=BB0_2 Depth=1
	v_mov_b64_e32 v[6:7], v[8:9]
	s_branch .LBB0_2
.LBB0_8:
	v_mov_b64_e32 v[8:9], v[6:7]
.LBB0_9:
	s_lshl_b64 s[2:3], s[6:7], 3
	s_add_u32 s2, s10, s2
	s_addc_u32 s3, s11, s3
	s_load_dwordx2 s[6:7], s[2:3], 0x0
	s_load_dwordx2 s[10:11], s[0:1], 0x20
	s_mov_b32 s2, 0x15e75bc
	s_waitcnt lgkmcnt(0)
	v_mul_lo_u32 v1, s6, v9
	v_mul_lo_u32 v4, s7, v8
	v_mad_u64_u32 v[2:3], s[0:1], s6, v8, v[2:3]
	v_add3_u32 v3, v4, v3, v1
	v_mul_hi_u32 v1, v0, s2
	v_mul_u32_u24_e32 v1, 0xbb, v1
	v_sub_u32_e32 v122, v0, v1
	v_cmp_gt_u64_e64 s[0:1], s[10:11], v[8:9]
	v_lshl_add_u64 v[120:121], v[2:3], 4, s[8:9]
	v_lshl_add_u32 v188, v122, 4, 0
	s_and_saveexec_b64 s[2:3], s[0:1]
	s_cbranch_execz .LBB0_11
; %bb.10:
	v_mov_b32_e32 v123, 0
	v_lshl_add_u64 v[32:33], v[122:123], 4, v[120:121]
	v_add_co_u32_e32 v16, vcc, 0x1000, v32
	global_load_dwordx4 v[0:3], v[32:33], off
	global_load_dwordx4 v[4:7], v[32:33], off offset:2992
	v_addc_co_u32_e32 v17, vcc, 0, v33, vcc
	v_add_co_u32_e32 v24, vcc, 0x2000, v32
	s_nop 1
	v_addc_co_u32_e32 v25, vcc, 0, v33, vcc
	v_add_co_u32_e32 v26, vcc, 0x3000, v32
	global_load_dwordx4 v[8:11], v[16:17], off offset:1888
	global_load_dwordx4 v[12:15], v[24:25], off offset:784
	v_addc_co_u32_e32 v27, vcc, 0, v33, vcc
	v_add_co_u32_e32 v34, vcc, 0x4000, v32
	global_load_dwordx4 v[16:19], v[24:25], off offset:3776
	global_load_dwordx4 v[20:23], v[26:27], off offset:2672
	v_addc_co_u32_e32 v35, vcc, 0, v33, vcc
	v_add_co_u32_e32 v40, vcc, 0x5000, v32
	s_nop 1
	v_addc_co_u32_e32 v41, vcc, 0, v33, vcc
	v_add_co_u32_e32 v42, vcc, 0x6000, v32
	global_load_dwordx4 v[24:27], v[34:35], off offset:1568
	global_load_dwordx4 v[28:31], v[40:41], off offset:464
	v_addc_co_u32_e32 v43, vcc, 0, v33, vcc
	global_load_dwordx4 v[32:35], v[40:41], off offset:3456
	global_load_dwordx4 v[36:39], v[42:43], off offset:2352
	s_waitcnt vmcnt(9)
	ds_write_b128 v188, v[0:3]
	s_waitcnt vmcnt(8)
	ds_write_b128 v188, v[4:7] offset:2992
	s_waitcnt vmcnt(7)
	ds_write_b128 v188, v[8:11] offset:5984
	;; [unrolled: 2-line block ×9, first 2 shown]
.LBB0_11:
	s_or_b64 exec, exec, s[2:3]
	s_waitcnt lgkmcnt(0)
	s_barrier
	ds_read_b128 v[4:7], v188 offset:28160
	ds_read_b128 v[8:11], v188 offset:1760
	ds_read_b128 v[12:15], v188
	ds_read_b128 v[16:19], v188 offset:3520
	ds_read_b128 v[20:23], v188 offset:5280
	ds_read_b128 v[24:27], v188 offset:26400
	ds_read_b128 v[28:31], v188 offset:24640
	s_mov_b32 s8, 0x4363dd80
	s_waitcnt lgkmcnt(5)
	v_add_f64 v[130:131], v[10:11], -v[6:7]
	s_mov_b32 s2, 0x910ea3b9
	s_mov_b32 s9, 0xbfe0d888
	;; [unrolled: 1-line block ×3, first 2 shown]
	v_add_f64 v[124:125], v[8:9], v[4:5]
	v_add_f64 v[126:127], v[10:11], v[6:7]
	s_mov_b32 s3, 0xbfeb34fa
	v_mul_f64 v[80:81], v[130:131], s[8:9]
	s_waitcnt lgkmcnt(1)
	v_add_f64 v[138:139], v[18:19], -v[26:27]
	s_mov_b32 s6, 0x2b2883cd
	s_mov_b32 s27, 0x3feca52d
	v_add_f64 v[136:137], v[8:9], -v[4:5]
	v_mul_f64 v[82:83], v[126:127], s[2:3]
	v_fma_f64 v[0:1], v[124:125], s[2:3], -v[80:81]
	v_add_f64 v[128:129], v[16:17], v[24:25]
	v_add_f64 v[134:135], v[18:19], v[26:27]
	s_mov_b32 s7, 0x3fdc86fa
	v_mul_f64 v[84:85], v[138:139], s[26:27]
	s_mov_b32 s14, 0xeb564b22
	v_add_f64 v[0:1], v[12:13], v[0:1]
	v_fma_f64 v[2:3], s[8:9], v[136:137], v[82:83]
	v_add_f64 v[144:145], v[16:17], -v[24:25]
	v_mul_f64 v[86:87], v[134:135], s[6:7]
	v_fma_f64 v[32:33], v[128:129], s[6:7], -v[84:85]
	s_mov_b32 s10, 0x3259b75e
	s_mov_b32 s15, 0xbfefdd0d
	s_waitcnt lgkmcnt(0)
	v_add_f64 v[142:143], v[22:23], -v[30:31]
	v_add_f64 v[2:3], v[14:15], v[2:3]
	v_add_f64 v[0:1], v[32:33], v[0:1]
	v_fma_f64 v[32:33], s[26:27], v[144:145], v[86:87]
	s_mov_b32 s11, 0x3fb79ee6
	v_add_f64 v[132:133], v[20:21], v[28:29]
	v_mul_f64 v[88:89], v[142:143], s[14:15]
	v_add_f64 v[140:141], v[22:23], v[30:31]
	v_add_f64 v[2:3], v[32:33], v[2:3]
	v_fma_f64 v[32:33], v[132:133], s[10:11], -v[88:89]
	v_add_f64 v[150:151], v[20:21], -v[28:29]
	v_mul_f64 v[90:91], v[140:141], s[10:11]
	v_add_f64 v[0:1], v[32:33], v[0:1]
	v_fma_f64 v[32:33], s[14:15], v[150:151], v[90:91]
	v_add_f64 v[2:3], v[32:33], v[2:3]
	ds_read_b128 v[32:35], v188 offset:22880
	ds_read_b128 v[36:39], v188 offset:7040
	;; [unrolled: 1-line block ×4, first 2 shown]
	s_mov_b32 s38, 0x6c9a05f6
	s_mov_b32 s12, 0x6ed5f1bb
	;; [unrolled: 1-line block ×3, first 2 shown]
	s_waitcnt lgkmcnt(2)
	v_add_f64 v[154:155], v[38:39], -v[34:35]
	s_mov_b32 s13, 0xbfe348c8
	v_add_f64 v[146:147], v[36:37], v[32:33]
	v_mul_f64 v[92:93], v[154:155], s[38:39]
	v_add_f64 v[152:153], v[38:39], v[34:35]
	s_mov_b32 s22, 0x5d8e7cdc
	v_fma_f64 v[48:49], v[146:147], s[12:13], -v[92:93]
	v_add_f64 v[162:163], v[36:37], -v[32:33]
	v_mul_f64 v[96:97], v[152:153], s[12:13]
	s_mov_b32 s18, 0x370991
	s_mov_b32 s23, 0xbfd71e95
	s_waitcnt lgkmcnt(0)
	v_add_f64 v[158:159], v[42:43], -v[46:47]
	v_add_f64 v[0:1], v[48:49], v[0:1]
	v_fma_f64 v[48:49], s[38:39], v[162:163], v[96:97]
	s_mov_b32 s19, 0x3fedd6d0
	v_add_f64 v[148:149], v[40:41], v[44:45]
	v_mul_f64 v[94:95], v[158:159], s[22:23]
	v_add_f64 v[156:157], v[42:43], v[46:47]
	v_add_f64 v[2:3], v[48:49], v[2:3]
	v_fma_f64 v[48:49], v[148:149], s[18:19], -v[94:95]
	v_add_f64 v[168:169], v[40:41], -v[44:45]
	v_mul_f64 v[98:99], v[156:157], s[18:19]
	v_add_f64 v[0:1], v[48:49], v[0:1]
	v_fma_f64 v[48:49], s[22:23], v[168:169], v[98:99]
	v_add_f64 v[2:3], v[48:49], v[2:3]
	ds_read_b128 v[48:51], v188 offset:19360
	ds_read_b128 v[52:55], v188 offset:10560
	;; [unrolled: 1-line block ×4, first 2 shown]
	s_mov_b32 s28, 0xacd6c6b4
	s_mov_b32 s20, 0x7faef3
	;; [unrolled: 1-line block ×3, first 2 shown]
	s_waitcnt lgkmcnt(2)
	v_add_f64 v[172:173], v[54:55], -v[50:51]
	s_mov_b32 s21, 0xbfef7484
	v_add_f64 v[160:161], v[52:53], v[48:49]
	v_mul_f64 v[100:101], v[172:173], s[28:29]
	v_add_f64 v[166:167], v[54:55], v[50:51]
	s_mov_b32 s40, 0x2a9d6da3
	v_fma_f64 v[64:65], v[160:161], s[20:21], -v[100:101]
	v_add_f64 v[178:179], v[52:53], -v[48:49]
	v_mul_f64 v[104:105], v[166:167], s[20:21]
	s_mov_b32 s24, 0x75d4884
	s_mov_b32 s41, 0x3fe58eea
	s_waitcnt lgkmcnt(0)
	v_add_f64 v[176:177], v[58:59], -v[62:63]
	v_add_f64 v[0:1], v[64:65], v[0:1]
	v_fma_f64 v[64:65], s[28:29], v[178:179], v[104:105]
	s_mov_b32 s25, 0x3fe7a5f6
	v_add_f64 v[164:165], v[56:57], v[60:61]
	v_mul_f64 v[102:103], v[176:177], s[40:41]
	v_add_f64 v[174:175], v[58:59], v[62:63]
	v_add_f64 v[2:3], v[64:65], v[2:3]
	v_fma_f64 v[64:65], v[164:165], s[24:25], -v[102:103]
	v_add_f64 v[184:185], v[56:57], -v[60:61]
	v_mul_f64 v[106:107], v[174:175], s[24:25]
	v_add_f64 v[0:1], v[64:65], v[0:1]
	v_fma_f64 v[64:65], s[40:41], v[184:185], v[106:107]
	v_add_f64 v[2:3], v[64:65], v[2:3]
	ds_read_b128 v[64:67], v188 offset:14080
	ds_read_b128 v[68:71], v188 offset:15840
	s_mov_b32 s34, 0x923c349f
	s_mov_b32 s30, 0xc61f0d01
	;; [unrolled: 1-line block ×4, first 2 shown]
	s_waitcnt lgkmcnt(0)
	v_add_f64 v[182:183], v[66:67], -v[70:71]
	v_add_f64 v[170:171], v[64:65], v[68:69]
	v_mul_f64 v[108:109], v[182:183], s[34:35]
	v_add_f64 v[180:181], v[66:67], v[70:71]
	v_fma_f64 v[72:73], v[170:171], s[30:31], -v[108:109]
	v_add_f64 v[186:187], v[64:65], -v[68:69]
	v_mul_f64 v[110:111], v[180:181], s[30:31]
	v_add_f64 v[0:1], v[72:73], v[0:1]
	v_fma_f64 v[72:73], s[34:35], v[186:187], v[110:111]
	s_movk_i32 s16, 0x6e
	v_add_f64 v[2:3], v[72:73], v[2:3]
	v_cmp_gt_u32_e32 vcc, s16, v122
	s_barrier
	s_and_saveexec_b64 s[16:17], vcc
	s_cbranch_execz .LBB0_13
; %bb.12:
	v_mul_f64 v[114:115], v[136:137], s[8:9]
	v_mul_f64 v[118:119], v[144:145], s[26:27]
	v_add_f64 v[82:83], v[82:83], -v[114:115]
	v_mul_f64 v[192:193], v[150:151], s[14:15]
	v_add_f64 v[86:87], v[86:87], -v[118:119]
	v_add_f64 v[82:83], v[14:15], v[82:83]
	v_mul_f64 v[196:197], v[162:163], s[38:39]
	v_add_f64 v[90:91], v[90:91], -v[192:193]
	v_add_f64 v[82:83], v[86:87], v[82:83]
	v_mul_f64 v[112:113], v[124:125], s[2:3]
	v_mul_f64 v[200:201], v[168:169], s[22:23]
	v_add_f64 v[96:97], v[96:97], -v[196:197]
	v_add_f64 v[82:83], v[90:91], v[82:83]
	v_mul_f64 v[116:117], v[128:129], s[6:7]
	v_mul_f64 v[204:205], v[178:179], s[28:29]
	v_add_f64 v[98:99], v[98:99], -v[200:201]
	v_add_f64 v[82:83], v[96:97], v[82:83]
	v_add_f64 v[80:81], v[112:113], v[80:81]
	v_mul_f64 v[190:191], v[132:133], s[10:11]
	v_mul_f64 v[208:209], v[184:185], s[40:41]
	s_mov_b32 s37, 0xbfe9895b
	s_mov_b32 s36, s38
	v_add_f64 v[104:105], v[104:105], -v[204:205]
	v_add_f64 v[82:83], v[98:99], v[82:83]
	v_add_f64 v[84:85], v[116:117], v[84:85]
	;; [unrolled: 1-line block ×3, first 2 shown]
	v_mul_f64 v[194:195], v[146:147], s[12:13]
	v_mul_f64 v[210:211], v[170:171], s[30:31]
	;; [unrolled: 1-line block ×3, first 2 shown]
	v_add_f64 v[106:107], v[106:107], -v[208:209]
	v_add_f64 v[82:83], v[104:105], v[82:83]
	v_add_f64 v[88:89], v[190:191], v[88:89]
	;; [unrolled: 1-line block ×3, first 2 shown]
	s_mov_b32 s49, 0x3feec746
	s_mov_b32 s48, s34
	v_mul_f64 v[112:113], v[136:137], s[36:37]
	v_mul_f64 v[198:199], v[148:149], s[18:19]
	;; [unrolled: 1-line block ×3, first 2 shown]
	v_add_f64 v[110:111], v[110:111], -v[212:213]
	v_add_f64 v[82:83], v[106:107], v[82:83]
	v_add_f64 v[86:87], v[210:211], v[108:109]
	;; [unrolled: 1-line block ×4, first 2 shown]
	v_mul_f64 v[108:109], v[144:145], s[48:49]
	v_fma_f64 v[114:115], s[12:13], v[126:127], v[112:113]
	v_mul_f64 v[200:201], v[130:131], s[36:37]
	v_add_f64 v[82:83], v[110:111], v[82:83]
	v_add_f64 v[96:97], v[202:203], v[100:101]
	v_add_f64 v[94:95], v[198:199], v[94:95]
	v_add_f64 v[80:81], v[92:93], v[80:81]
	v_mul_f64 v[104:105], v[150:151], s[22:23]
	v_fma_f64 v[110:111], s[30:31], v[134:135], v[108:109]
	v_add_f64 v[114:115], v[14:15], v[114:115]
	v_mul_f64 v[196:197], v[138:139], s[48:49]
	v_fma_f64 v[202:203], v[124:125], s[12:13], -v[200:201]
	v_mul_f64 v[206:207], v[164:165], s[24:25]
	s_mov_b32 s53, 0x3fefdd0d
	s_mov_b32 s52, s14
	v_add_f64 v[80:81], v[94:95], v[80:81]
	v_mul_f64 v[100:101], v[162:163], s[8:9]
	v_fma_f64 v[106:107], s[18:19], v[140:141], v[104:105]
	v_add_f64 v[110:111], v[110:111], v[114:115]
	v_mul_f64 v[192:193], v[142:143], s[22:23]
	v_fma_f64 v[198:199], v[128:129], s[30:31], -v[196:197]
	v_add_f64 v[202:203], v[12:13], v[202:203]
	v_add_f64 v[90:91], v[206:207], v[102:103]
	v_add_f64 v[80:81], v[96:97], v[80:81]
	s_mov_b32 s45, 0xbfe58eea
	s_mov_b32 s44, s40
	v_mul_f64 v[96:97], v[168:169], s[52:53]
	v_fma_f64 v[102:103], s[2:3], v[152:153], v[100:101]
	v_add_f64 v[106:107], v[106:107], v[110:111]
	v_mul_f64 v[118:119], v[154:155], s[8:9]
	v_fma_f64 v[194:195], v[132:133], s[18:19], -v[192:193]
	v_add_f64 v[198:199], v[198:199], v[202:203]
	v_mul_f64 v[92:93], v[178:179], s[44:45]
	v_fma_f64 v[98:99], s[10:11], v[156:157], v[96:97]
	v_add_f64 v[102:103], v[102:103], v[106:107]
	v_mul_f64 v[114:115], v[158:159], s[52:53]
	v_fma_f64 v[190:191], v[146:147], s[2:3], -v[118:119]
	v_add_f64 v[194:195], v[194:195], v[198:199]
	v_add_f64 v[80:81], v[90:91], v[80:81]
	v_mul_f64 v[90:91], v[184:185], s[28:29]
	v_fma_f64 v[94:95], s[24:25], v[166:167], v[92:93]
	v_add_f64 v[98:99], v[98:99], v[102:103]
	v_mul_f64 v[106:107], v[172:173], s[44:45]
	v_fma_f64 v[116:117], v[148:149], s[10:11], -v[114:115]
	v_add_f64 v[190:191], v[190:191], v[194:195]
	;; [unrolled: 7-line block ×3, first 2 shown]
	v_fma_f64 v[84:85], s[6:7], v[180:181], v[88:89]
	v_add_f64 v[86:87], v[86:87], v[94:95]
	v_mul_f64 v[94:95], v[182:183], s[26:27]
	v_fma_f64 v[102:103], v[164:165], s[20:21], -v[98:99]
	v_add_f64 v[110:111], v[110:111], v[116:117]
	v_add_f64 v[86:87], v[84:85], v[86:87]
	v_fma_f64 v[84:85], v[170:171], s[6:7], -v[94:95]
	v_add_f64 v[102:103], v[102:103], v[110:111]
	v_add_f64 v[84:85], v[84:85], v[102:103]
	v_fma_f64 v[102:103], v[140:141], s[18:19], -v[104:105]
	v_fma_f64 v[104:105], v[134:135], s[30:31], -v[108:109]
	;; [unrolled: 1-line block ×3, first 2 shown]
	v_add_f64 v[108:109], v[14:15], v[108:109]
	v_add_f64 v[104:105], v[104:105], v[108:109]
	v_fma_f64 v[100:101], v[152:153], s[2:3], -v[100:101]
	v_add_f64 v[102:103], v[102:103], v[104:105]
	s_mov_b32 s43, 0x3fd71e95
	s_mov_b32 s42, s22
	v_mul_f64 v[234:235], v[136:137], s[28:29]
	v_fma_f64 v[96:97], v[156:157], s[10:11], -v[96:97]
	v_add_f64 v[100:101], v[100:101], v[102:103]
	v_mul_f64 v[230:231], v[144:145], s[42:43]
	v_fma_f64 v[236:237], s[20:21], v[126:127], v[234:235]
	v_mul_f64 v[248:249], v[130:131], s[28:29]
	v_fma_f64 v[92:93], v[166:167], s[24:25], -v[92:93]
	v_add_f64 v[96:97], v[96:97], v[100:101]
	v_mul_f64 v[226:227], v[150:151], s[8:9]
	v_fma_f64 v[232:233], s[18:19], v[134:135], v[230:231]
	v_add_f64 v[236:237], v[14:15], v[236:237]
	v_mul_f64 v[244:245], v[138:139], s[42:43]
	v_fma_f64 v[250:251], v[124:125], s[20:21], -v[248:249]
	v_fma_f64 v[90:91], v[174:175], s[20:21], -v[90:91]
	v_add_f64 v[92:93], v[92:93], v[96:97]
	v_mul_f64 v[222:223], v[162:163], s[40:41]
	v_fma_f64 v[228:229], s[2:3], v[140:141], v[226:227]
	v_add_f64 v[232:233], v[232:233], v[236:237]
	v_mul_f64 v[242:243], v[142:143], s[8:9]
	v_fma_f64 v[246:247], v[128:129], s[18:19], -v[244:245]
	v_add_f64 v[250:251], v[12:13], v[250:251]
	v_fma_f64 v[88:89], v[180:181], s[6:7], -v[88:89]
	v_add_f64 v[90:91], v[90:91], v[92:93]
	v_fmac_f64_e32 v[200:201], s[12:13], v[124:125]
	v_mul_f64 v[218:219], v[168:169], s[36:37]
	v_fma_f64 v[224:225], s[24:25], v[152:153], v[222:223]
	v_add_f64 v[228:229], v[228:229], v[232:233]
	v_mul_f64 v[240:241], v[154:155], s[40:41]
	v_add_f64 v[246:247], v[246:247], v[250:251]
	v_fma_f64 v[250:251], v[132:133], s[2:3], -v[242:243]
	v_add_f64 v[90:91], v[88:89], v[90:91]
	v_fmac_f64_e32 v[196:197], s[30:31], v[128:129]
	v_add_f64 v[88:89], v[12:13], v[200:201]
	v_mul_f64 v[214:215], v[178:179], s[26:27]
	v_fma_f64 v[220:221], s[12:13], v[156:157], v[218:219]
	v_add_f64 v[224:225], v[224:225], v[228:229]
	v_mul_f64 v[236:237], v[158:159], s[36:37]
	v_add_f64 v[246:247], v[250:251], v[246:247]
	v_fma_f64 v[250:251], v[146:147], s[24:25], -v[240:241]
	v_fmac_f64_e32 v[192:193], s[18:19], v[132:133]
	v_add_f64 v[88:89], v[196:197], v[88:89]
	s_mov_b32 s51, 0x3fe0d888
	s_mov_b32 s50, s8
	v_mul_f64 v[190:191], v[136:137], s[34:35]
	v_mul_f64 v[78:79], v[184:185], s[34:35]
	v_fma_f64 v[216:217], s[6:7], v[166:167], v[214:215]
	v_add_f64 v[220:221], v[220:221], v[224:225]
	v_mul_f64 v[228:229], v[172:173], s[26:27]
	v_fma_f64 v[238:239], v[148:149], s[12:13], -v[236:237]
	v_add_f64 v[246:247], v[250:251], v[246:247]
	v_fmac_f64_e32 v[118:119], s[2:3], v[146:147]
	v_add_f64 v[88:89], v[192:193], v[88:89]
	v_mul_f64 v[116:117], v[144:145], s[50:51]
	v_fma_f64 v[192:193], s[30:31], v[126:127], v[190:191]
	v_mul_f64 v[208:209], v[130:131], s[34:35]
	v_mul_f64 v[76:77], v[186:187], s[52:53]
	v_fma_f64 v[74:75], s[30:31], v[174:175], v[78:79]
	v_add_f64 v[216:217], v[216:217], v[220:221]
	v_mul_f64 v[220:221], v[176:177], s[34:35]
	v_fma_f64 v[232:233], v[160:161], s[6:7], -v[228:229]
	v_add_f64 v[238:239], v[238:239], v[246:247]
	v_fmac_f64_e32 v[114:115], s[10:11], v[148:149]
	v_add_f64 v[88:89], v[118:119], v[88:89]
	s_mov_b32 s47, 0xbfeca52d
	s_mov_b32 s46, s26
	v_mul_f64 v[112:113], v[150:151], s[40:41]
	v_fma_f64 v[118:119], s[2:3], v[134:135], v[116:117]
	v_add_f64 v[192:193], v[14:15], v[192:193]
	v_mul_f64 v[204:205], v[138:139], s[50:51]
	v_fma_f64 v[210:211], v[124:125], s[30:31], -v[208:209]
	v_fma_f64 v[72:73], s[10:11], v[180:181], v[76:77]
	v_add_f64 v[74:75], v[74:75], v[216:217]
	v_mul_f64 v[216:217], v[182:183], s[52:53]
	v_fma_f64 v[224:225], v[164:165], s[30:31], -v[220:221]
	v_add_f64 v[232:233], v[232:233], v[238:239]
	v_add_f64 v[88:89], v[114:115], v[88:89]
	v_mul_f64 v[108:109], v[162:163], s[46:47]
	v_fma_f64 v[114:115], s[24:25], v[140:141], v[112:113]
	v_add_f64 v[118:119], v[118:119], v[192:193]
	v_mul_f64 v[200:201], v[142:143], s[40:41]
	v_fma_f64 v[206:207], v[128:129], s[2:3], -v[204:205]
	v_add_f64 v[210:211], v[12:13], v[210:211]
	v_add_f64 v[74:75], v[72:73], v[74:75]
	v_fma_f64 v[72:73], v[170:171], s[10:11], -v[216:217]
	v_add_f64 v[224:225], v[224:225], v[232:233]
	v_fmac_f64_e32 v[106:107], s[24:25], v[160:161]
	v_mul_f64 v[104:105], v[168:169], s[28:29]
	v_fma_f64 v[110:111], s[6:7], v[152:153], v[108:109]
	v_add_f64 v[114:115], v[114:115], v[118:119]
	v_mul_f64 v[196:197], v[154:155], s[46:47]
	v_fma_f64 v[202:203], v[132:133], s[24:25], -v[200:201]
	v_add_f64 v[206:207], v[206:207], v[210:211]
	v_add_f64 v[72:73], v[72:73], v[224:225]
	v_fma_f64 v[224:225], v[140:141], s[2:3], -v[226:227]
	v_fma_f64 v[226:227], v[134:135], s[18:19], -v[230:231]
	;; [unrolled: 1-line block ×3, first 2 shown]
	v_fmac_f64_e32 v[98:99], s[20:21], v[164:165]
	v_add_f64 v[88:89], v[106:107], v[88:89]
	v_mul_f64 v[100:101], v[178:179], s[52:53]
	v_fma_f64 v[106:107], s[20:21], v[156:157], v[104:105]
	v_add_f64 v[110:111], v[110:111], v[114:115]
	v_mul_f64 v[192:193], v[158:159], s[28:29]
	v_fma_f64 v[198:199], v[146:147], s[6:7], -v[196:197]
	v_add_f64 v[202:203], v[202:203], v[206:207]
	v_add_f64 v[230:231], v[14:15], v[230:231]
	v_fmac_f64_e32 v[94:95], s[6:7], v[170:171]
	v_add_f64 v[88:89], v[98:99], v[88:89]
	v_mul_f64 v[98:99], v[184:185], s[22:23]
	v_fma_f64 v[102:103], s[10:11], v[166:167], v[100:101]
	v_add_f64 v[106:107], v[106:107], v[110:111]
	v_mul_f64 v[114:115], v[172:173], s[52:53]
	v_fma_f64 v[194:195], v[148:149], s[20:21], -v[192:193]
	v_add_f64 v[198:199], v[198:199], v[202:203]
	v_add_f64 v[226:227], v[226:227], v[230:231]
	;; [unrolled: 1-line block ×3, first 2 shown]
	v_mul_f64 v[96:97], v[186:187], s[36:37]
	v_fma_f64 v[94:95], s[18:19], v[174:175], v[98:99]
	v_add_f64 v[102:103], v[102:103], v[106:107]
	v_mul_f64 v[106:107], v[176:177], s[22:23]
	v_fma_f64 v[118:119], v[160:161], s[10:11], -v[114:115]
	v_add_f64 v[194:195], v[194:195], v[198:199]
	v_fma_f64 v[222:223], v[152:153], s[24:25], -v[222:223]
	v_add_f64 v[224:225], v[224:225], v[226:227]
	v_fma_f64 v[92:93], s[12:13], v[180:181], v[96:97]
	v_add_f64 v[94:95], v[94:95], v[102:103]
	v_mul_f64 v[102:103], v[182:183], s[36:37]
	v_fma_f64 v[110:111], v[164:165], s[18:19], -v[106:107]
	v_add_f64 v[118:119], v[118:119], v[194:195]
	v_fma_f64 v[218:219], v[156:157], s[12:13], -v[218:219]
	v_add_f64 v[222:223], v[222:223], v[224:225]
	v_add_f64 v[94:95], v[92:93], v[94:95]
	v_fma_f64 v[92:93], v[170:171], s[12:13], -v[102:103]
	v_add_f64 v[110:111], v[110:111], v[118:119]
	v_fma_f64 v[214:215], v[166:167], s[6:7], -v[214:215]
	v_add_f64 v[218:219], v[218:219], v[222:223]
	v_add_f64 v[92:93], v[92:93], v[110:111]
	v_fma_f64 v[110:111], v[140:141], s[24:25], -v[112:113]
	v_fma_f64 v[112:113], v[134:135], s[2:3], -v[116:117]
	;; [unrolled: 1-line block ×4, first 2 shown]
	v_add_f64 v[214:215], v[214:215], v[218:219]
	v_add_f64 v[116:117], v[14:15], v[116:117]
	v_fma_f64 v[76:77], v[180:181], s[10:11], -v[76:77]
	v_add_f64 v[78:79], v[78:79], v[214:215]
	v_fmac_f64_e32 v[248:249], s[20:21], v[124:125]
	v_add_f64 v[112:113], v[112:113], v[116:117]
	v_add_f64 v[78:79], v[76:77], v[78:79]
	v_fmac_f64_e32 v[244:245], s[18:19], v[128:129]
	v_add_f64 v[76:77], v[12:13], v[248:249]
	v_fma_f64 v[108:109], v[152:153], s[6:7], -v[108:109]
	v_add_f64 v[110:111], v[110:111], v[112:113]
	v_fmac_f64_e32 v[242:243], s[2:3], v[132:133]
	v_add_f64 v[76:77], v[244:245], v[76:77]
	v_fma_f64 v[104:105], v[156:157], s[20:21], -v[104:105]
	;; [unrolled: 4-line block ×5, first 2 shown]
	v_add_f64 v[98:99], v[98:99], v[100:101]
	v_fmac_f64_e32 v[208:209], s[30:31], v[124:125]
	v_fmac_f64_e32 v[220:221], s[30:31], v[164:165]
	v_add_f64 v[76:77], v[228:229], v[76:77]
	v_add_f64 v[98:99], v[96:97], v[98:99]
	v_fmac_f64_e32 v[204:205], s[2:3], v[128:129]
	v_add_f64 v[96:97], v[12:13], v[208:209]
	v_fmac_f64_e32 v[216:217], s[10:11], v[170:171]
	v_add_f64 v[76:77], v[220:221], v[76:77]
	v_fmac_f64_e32 v[200:201], s[24:25], v[132:133]
	v_add_f64 v[96:97], v[204:205], v[96:97]
	v_mul_f64 v[198:199], v[136:137], s[14:15]
	v_add_f64 v[76:77], v[216:217], v[76:77]
	v_fmac_f64_e32 v[196:197], s[6:7], v[146:147]
	v_add_f64 v[96:97], v[200:201], v[96:97]
	v_mul_f64 v[194:195], v[144:145], s[28:29]
	v_fma_f64 v[200:201], s[10:11], v[126:127], v[198:199]
	v_mul_f64 v[216:217], v[130:131], s[14:15]
	v_fmac_f64_e32 v[192:193], s[20:21], v[148:149]
	v_add_f64 v[96:97], v[196:197], v[96:97]
	v_mul_f64 v[190:191], v[150:151], s[48:49]
	v_fma_f64 v[196:197], s[20:21], v[134:135], v[194:195]
	v_add_f64 v[200:201], v[14:15], v[200:201]
	v_mul_f64 v[212:213], v[138:139], s[28:29]
	v_fma_f64 v[218:219], v[124:125], s[10:11], -v[216:217]
	v_add_f64 v[96:97], v[192:193], v[96:97]
	v_mul_f64 v[116:117], v[162:163], s[42:43]
	v_fma_f64 v[192:193], s[30:31], v[140:141], v[190:191]
	v_add_f64 v[196:197], v[196:197], v[200:201]
	v_mul_f64 v[208:209], v[142:143], s[48:49]
	v_fma_f64 v[214:215], v[128:129], s[20:21], -v[212:213]
	v_add_f64 v[218:219], v[12:13], v[218:219]
	v_fmac_f64_e32 v[114:115], s[10:11], v[160:161]
	v_mul_f64 v[112:113], v[168:169], s[46:47]
	v_fma_f64 v[118:119], s[18:19], v[152:153], v[116:117]
	v_add_f64 v[192:193], v[192:193], v[196:197]
	v_mul_f64 v[204:205], v[154:155], s[42:43]
	v_fma_f64 v[210:211], v[132:133], s[30:31], -v[208:209]
	v_add_f64 v[214:215], v[214:215], v[218:219]
	v_fmac_f64_e32 v[106:107], s[18:19], v[164:165]
	v_add_f64 v[96:97], v[114:115], v[96:97]
	v_mul_f64 v[108:109], v[178:179], s[8:9]
	v_fma_f64 v[114:115], s[6:7], v[156:157], v[112:113]
	v_add_f64 v[118:119], v[118:119], v[192:193]
	v_mul_f64 v[200:201], v[158:159], s[46:47]
	v_fma_f64 v[206:207], v[146:147], s[18:19], -v[204:205]
	v_add_f64 v[210:211], v[210:211], v[214:215]
	v_fmac_f64_e32 v[102:103], s[12:13], v[170:171]
	v_add_f64 v[96:97], v[106:107], v[96:97]
	v_mul_f64 v[106:107], v[184:185], s[38:39]
	v_fma_f64 v[110:111], s[2:3], v[166:167], v[108:109]
	v_add_f64 v[114:115], v[114:115], v[118:119]
	v_mul_f64 v[192:193], v[172:173], s[8:9]
	v_fma_f64 v[202:203], v[148:149], s[6:7], -v[200:201]
	v_add_f64 v[206:207], v[206:207], v[210:211]
	v_add_f64 v[96:97], v[102:103], v[96:97]
	v_mul_f64 v[104:105], v[186:187], s[40:41]
	v_fma_f64 v[102:103], s[12:13], v[174:175], v[106:107]
	v_add_f64 v[110:111], v[110:111], v[114:115]
	v_mul_f64 v[114:115], v[176:177], s[38:39]
	v_fma_f64 v[196:197], v[160:161], s[2:3], -v[192:193]
	v_add_f64 v[202:203], v[202:203], v[206:207]
	v_fma_f64 v[100:101], s[24:25], v[180:181], v[104:105]
	v_add_f64 v[102:103], v[102:103], v[110:111]
	v_mul_f64 v[110:111], v[182:183], s[40:41]
	v_fma_f64 v[118:119], v[164:165], s[12:13], -v[114:115]
	v_add_f64 v[196:197], v[196:197], v[202:203]
	v_add_f64 v[102:103], v[100:101], v[102:103]
	v_fma_f64 v[100:101], v[170:171], s[24:25], -v[110:111]
	v_add_f64 v[118:119], v[118:119], v[196:197]
	v_add_f64 v[100:101], v[100:101], v[118:119]
	v_fma_f64 v[118:119], v[140:141], s[30:31], -v[190:191]
	v_fma_f64 v[190:191], v[134:135], s[20:21], -v[194:195]
	;; [unrolled: 1-line block ×3, first 2 shown]
	v_add_f64 v[194:195], v[14:15], v[194:195]
	v_add_f64 v[190:191], v[190:191], v[194:195]
	v_fma_f64 v[116:117], v[152:153], s[18:19], -v[116:117]
	v_add_f64 v[118:119], v[118:119], v[190:191]
	v_fma_f64 v[112:113], v[156:157], s[6:7], -v[112:113]
	;; [unrolled: 2-line block ×5, first 2 shown]
	v_add_f64 v[106:107], v[106:107], v[108:109]
	v_fmac_f64_e32 v[216:217], s[10:11], v[124:125]
	v_add_f64 v[106:107], v[104:105], v[106:107]
	v_fmac_f64_e32 v[212:213], s[20:21], v[128:129]
	;; [unrolled: 2-line block ×3, first 2 shown]
	v_add_f64 v[104:105], v[212:213], v[104:105]
	v_mul_f64 v[206:207], v[136:137], s[46:47]
	v_fmac_f64_e32 v[204:205], s[18:19], v[146:147]
	v_add_f64 v[104:105], v[208:209], v[104:105]
	s_mov_b32 s39, 0x3fc7851a
	s_mov_b32 s38, s28
	v_mul_f64 v[202:203], v[144:145], s[36:37]
	v_fma_f64 v[208:209], s[6:7], v[126:127], v[206:207]
	v_mul_f64 v[224:225], v[130:131], s[46:47]
	v_fmac_f64_e32 v[200:201], s[6:7], v[148:149]
	v_add_f64 v[104:105], v[204:205], v[104:105]
	v_mul_f64 v[198:199], v[150:151], s[38:39]
	v_fma_f64 v[204:205], s[12:13], v[134:135], v[202:203]
	v_add_f64 v[208:209], v[14:15], v[208:209]
	v_mul_f64 v[220:221], v[138:139], s[36:37]
	v_fma_f64 v[226:227], v[124:125], s[6:7], -v[224:225]
	v_add_f64 v[104:105], v[200:201], v[104:105]
	v_mul_f64 v[194:195], v[162:163], s[48:49]
	v_fma_f64 v[200:201], s[20:21], v[140:141], v[198:199]
	v_add_f64 v[204:205], v[204:205], v[208:209]
	v_mul_f64 v[216:217], v[142:143], s[38:39]
	v_fma_f64 v[222:223], v[128:129], s[12:13], -v[220:221]
	v_add_f64 v[226:227], v[12:13], v[226:227]
	v_fmac_f64_e32 v[192:193], s[2:3], v[160:161]
	v_mul_f64 v[190:191], v[168:169], s[40:41]
	v_fma_f64 v[196:197], s[30:31], v[152:153], v[194:195]
	v_add_f64 v[200:201], v[200:201], v[204:205]
	v_mul_f64 v[212:213], v[154:155], s[48:49]
	v_fma_f64 v[218:219], v[132:133], s[20:21], -v[216:217]
	v_add_f64 v[222:223], v[222:223], v[226:227]
	v_fmac_f64_e32 v[114:115], s[12:13], v[164:165]
	v_add_f64 v[104:105], v[192:193], v[104:105]
	v_mul_f64 v[116:117], v[178:179], s[22:23]
	v_fma_f64 v[192:193], s[24:25], v[156:157], v[190:191]
	v_add_f64 v[196:197], v[196:197], v[200:201]
	v_mul_f64 v[208:209], v[158:159], s[40:41]
	v_fma_f64 v[214:215], v[146:147], s[30:31], -v[212:213]
	v_add_f64 v[218:219], v[218:219], v[222:223]
	v_fmac_f64_e32 v[110:111], s[24:25], v[170:171]
	v_add_f64 v[104:105], v[114:115], v[104:105]
	v_mul_f64 v[114:115], v[184:185], s[14:15]
	v_fma_f64 v[118:119], s[18:19], v[166:167], v[116:117]
	v_add_f64 v[192:193], v[192:193], v[196:197]
	v_mul_f64 v[200:201], v[172:173], s[22:23]
	v_fma_f64 v[210:211], v[148:149], s[24:25], -v[208:209]
	v_add_f64 v[214:215], v[214:215], v[218:219]
	v_add_f64 v[104:105], v[110:111], v[104:105]
	v_mul_f64 v[112:113], v[186:187], s[8:9]
	v_fma_f64 v[110:111], s[10:11], v[174:175], v[114:115]
	v_add_f64 v[118:119], v[118:119], v[192:193]
	v_mul_f64 v[196:197], v[176:177], s[14:15]
	v_fma_f64 v[204:205], v[160:161], s[18:19], -v[200:201]
	v_add_f64 v[210:211], v[210:211], v[214:215]
	v_fma_f64 v[108:109], s[2:3], v[180:181], v[112:113]
	v_add_f64 v[110:111], v[110:111], v[118:119]
	v_mul_f64 v[192:193], v[182:183], s[8:9]
	v_fma_f64 v[118:119], v[164:165], s[10:11], -v[196:197]
	v_add_f64 v[204:205], v[204:205], v[210:211]
	v_add_f64 v[110:111], v[108:109], v[110:111]
	v_fma_f64 v[108:109], v[170:171], s[2:3], -v[192:193]
	v_add_f64 v[118:119], v[118:119], v[204:205]
	v_add_f64 v[108:109], v[108:109], v[118:119]
	v_fma_f64 v[118:119], v[156:157], s[24:25], -v[190:191]
	v_fma_f64 v[190:191], v[152:153], s[30:31], -v[194:195]
	;; [unrolled: 1-line block ×5, first 2 shown]
	v_add_f64 v[202:203], v[14:15], v[202:203]
	v_add_f64 v[198:199], v[198:199], v[202:203]
	v_add_f64 v[194:195], v[194:195], v[198:199]
	v_add_f64 v[190:191], v[190:191], v[194:195]
	v_fma_f64 v[116:117], v[166:167], s[18:19], -v[116:117]
	v_add_f64 v[118:119], v[118:119], v[190:191]
	v_fma_f64 v[114:115], v[174:175], s[10:11], -v[114:115]
	v_add_f64 v[116:117], v[116:117], v[118:119]
	;; [unrolled: 2-line block ×3, first 2 shown]
	v_fmac_f64_e32 v[224:225], s[6:7], v[124:125]
	v_add_f64 v[118:119], v[112:113], v[114:115]
	v_fmac_f64_e32 v[220:221], s[12:13], v[128:129]
	v_add_f64 v[112:113], v[12:13], v[224:225]
	;; [unrolled: 2-line block ×3, first 2 shown]
	v_mul_f64 v[214:215], v[136:137], s[44:45]
	v_fmac_f64_e32 v[212:213], s[30:31], v[146:147]
	v_add_f64 v[112:113], v[216:217], v[112:113]
	v_mul_f64 v[210:211], v[144:145], s[14:15]
	v_fma_f64 v[216:217], s[24:25], v[126:127], v[214:215]
	v_mul_f64 v[232:233], v[130:131], s[44:45]
	v_fmac_f64_e32 v[208:209], s[24:25], v[148:149]
	v_add_f64 v[112:113], v[212:213], v[112:113]
	v_mul_f64 v[206:207], v[150:151], s[36:37]
	v_fma_f64 v[212:213], s[10:11], v[134:135], v[210:211]
	v_add_f64 v[216:217], v[14:15], v[216:217]
	v_mul_f64 v[228:229], v[138:139], s[14:15]
	v_fma_f64 v[234:235], v[124:125], s[24:25], -v[232:233]
	v_fmac_f64_e32 v[200:201], s[18:19], v[160:161]
	v_add_f64 v[112:113], v[208:209], v[112:113]
	v_mul_f64 v[202:203], v[162:163], s[28:29]
	v_fma_f64 v[208:209], s[12:13], v[140:141], v[206:207]
	v_add_f64 v[212:213], v[212:213], v[216:217]
	v_mul_f64 v[224:225], v[142:143], s[36:37]
	v_fma_f64 v[230:231], v[128:129], s[10:11], -v[228:229]
	v_add_f64 v[234:235], v[12:13], v[234:235]
	v_fmac_f64_e32 v[196:197], s[10:11], v[164:165]
	v_add_f64 v[112:113], v[200:201], v[112:113]
	v_mul_f64 v[198:199], v[168:169], s[50:51]
	v_fma_f64 v[204:205], s[20:21], v[152:153], v[202:203]
	v_add_f64 v[208:209], v[208:209], v[212:213]
	v_mul_f64 v[220:221], v[154:155], s[28:29]
	v_fma_f64 v[226:227], v[132:133], s[12:13], -v[224:225]
	v_add_f64 v[230:231], v[230:231], v[234:235]
	;; [unrolled: 8-line block ×3, first 2 shown]
	v_add_f64 v[116:117], v[192:193], v[112:113]
	v_mul_f64 v[192:193], v[184:185], s[26:27]
	v_fma_f64 v[196:197], s[30:31], v[166:167], v[194:195]
	v_add_f64 v[200:201], v[200:201], v[204:205]
	v_mul_f64 v[208:209], v[172:173], s[48:49]
	v_fma_f64 v[218:219], v[148:149], s[2:3], -v[216:217]
	v_add_f64 v[222:223], v[222:223], v[226:227]
	v_mul_f64 v[190:191], v[186:187], s[42:43]
	v_fma_f64 v[114:115], s[6:7], v[174:175], v[192:193]
	v_add_f64 v[196:197], v[196:197], v[200:201]
	v_mul_f64 v[200:201], v[176:177], s[26:27]
	v_fma_f64 v[212:213], v[160:161], s[30:31], -v[208:209]
	v_add_f64 v[218:219], v[218:219], v[222:223]
	v_fma_f64 v[112:113], s[18:19], v[180:181], v[190:191]
	v_add_f64 v[114:115], v[114:115], v[196:197]
	v_mul_f64 v[196:197], v[182:183], s[42:43]
	v_fma_f64 v[204:205], v[164:165], s[6:7], -v[200:201]
	v_add_f64 v[212:213], v[212:213], v[218:219]
	v_add_f64 v[114:115], v[112:113], v[114:115]
	v_fma_f64 v[112:113], v[170:171], s[18:19], -v[196:197]
	v_add_f64 v[204:205], v[204:205], v[212:213]
	v_add_f64 v[112:113], v[112:113], v[204:205]
	v_fma_f64 v[204:205], v[140:141], s[12:13], -v[206:207]
	v_fma_f64 v[206:207], v[134:135], s[10:11], -v[210:211]
	;; [unrolled: 1-line block ×3, first 2 shown]
	v_add_f64 v[210:211], v[14:15], v[210:211]
	v_add_f64 v[206:207], v[206:207], v[210:211]
	v_fma_f64 v[202:203], v[152:153], s[20:21], -v[202:203]
	v_add_f64 v[204:205], v[204:205], v[206:207]
	v_fma_f64 v[198:199], v[156:157], s[2:3], -v[198:199]
	v_add_f64 v[202:203], v[202:203], v[204:205]
	v_fma_f64 v[194:195], v[166:167], s[30:31], -v[194:195]
	v_add_f64 v[198:199], v[198:199], v[202:203]
	v_fma_f64 v[192:193], v[174:175], s[6:7], -v[192:193]
	v_add_f64 v[194:195], v[194:195], v[198:199]
	v_fma_f64 v[190:191], v[180:181], s[18:19], -v[190:191]
	v_add_f64 v[192:193], v[192:193], v[194:195]
	v_fmac_f64_e32 v[232:233], s[24:25], v[124:125]
	v_add_f64 v[10:11], v[14:15], v[10:11]
	v_add_f64 v[8:9], v[12:13], v[8:9]
	v_add_f64 v[192:193], v[190:191], v[192:193]
	v_fmac_f64_e32 v[228:229], s[10:11], v[128:129]
	v_add_f64 v[190:191], v[12:13], v[232:233]
	v_add_f64 v[10:11], v[10:11], v[18:19]
	;; [unrolled: 4-line block ×5, first 2 shown]
	v_add_f64 v[8:9], v[8:9], v[40:41]
	v_fmac_f64_e32 v[208:209], s[30:31], v[160:161]
	v_add_f64 v[190:191], v[216:217], v[190:191]
	v_mul_f64 v[136:137], v[136:137], s[22:23]
	v_add_f64 v[10:11], v[10:11], v[54:55]
	v_add_f64 v[8:9], v[8:9], v[52:53]
	;; [unrolled: 1-line block ×3, first 2 shown]
	v_mul_f64 v[206:207], v[144:145], s[44:45]
	v_fma_f64 v[208:209], s[18:19], v[126:127], v[136:137]
	v_add_f64 v[10:11], v[10:11], v[58:59]
	v_add_f64 v[8:9], v[8:9], v[56:57]
	v_mul_f64 v[150:151], v[150:151], s[46:47]
	v_fma_f64 v[144:145], s[24:25], v[134:135], v[206:207]
	v_add_f64 v[208:209], v[14:15], v[208:209]
	v_mul_f64 v[130:131], v[130:131], s[22:23]
	v_add_f64 v[10:11], v[10:11], v[66:67]
	v_add_f64 v[8:9], v[8:9], v[64:65]
	v_fma_f64 v[204:205], s[6:7], v[140:141], v[150:151]
	v_add_f64 v[144:145], v[144:145], v[208:209]
	v_mul_f64 v[138:139], v[138:139], s[44:45]
	v_fma_f64 v[210:211], v[124:125], s[18:19], -v[130:131]
	v_fma_f64 v[126:127], v[126:127], s[18:19], -v[136:137]
	v_fmac_f64_e32 v[130:131], s[18:19], v[124:125]
	v_add_f64 v[10:11], v[10:11], v[70:71]
	v_add_f64 v[8:9], v[8:9], v[68:69]
	v_mul_f64 v[162:163], v[162:163], s[14:15]
	v_add_f64 v[144:145], v[204:205], v[144:145]
	v_mul_f64 v[204:205], v[142:143], s[46:47]
	v_fma_f64 v[208:209], v[128:129], s[24:25], -v[138:139]
	v_add_f64 v[210:211], v[12:13], v[210:211]
	v_fma_f64 v[134:135], v[134:135], s[24:25], -v[206:207]
	v_add_f64 v[126:127], v[14:15], v[126:127]
	v_fmac_f64_e32 v[138:139], s[24:25], v[128:129]
	v_add_f64 v[124:125], v[12:13], v[130:131]
	v_add_f64 v[10:11], v[10:11], v[62:63]
	;; [unrolled: 1-line block ×3, first 2 shown]
	v_fmac_f64_e32 v[200:201], s[6:7], v[164:165]
	v_mul_f64 v[168:169], v[168:169], s[34:35]
	v_fma_f64 v[202:203], s[10:11], v[152:153], v[162:163]
	v_mul_f64 v[154:155], v[154:155], s[14:15]
	v_fma_f64 v[142:143], v[132:133], s[6:7], -v[204:205]
	v_add_f64 v[208:209], v[208:209], v[210:211]
	v_fma_f64 v[140:141], v[140:141], s[6:7], -v[150:151]
	v_add_f64 v[126:127], v[134:135], v[126:127]
	v_fmac_f64_e32 v[204:205], s[6:7], v[132:133]
	v_add_f64 v[124:125], v[138:139], v[124:125]
	v_add_f64 v[10:11], v[10:11], v[50:51]
	;; [unrolled: 1-line block ×4, first 2 shown]
	v_mul_f64 v[178:179], v[178:179], s[36:37]
	v_fma_f64 v[200:201], s[30:31], v[156:157], v[168:169]
	v_add_f64 v[144:145], v[202:203], v[144:145]
	v_mul_f64 v[158:159], v[158:159], s[34:35]
	v_fma_f64 v[202:203], v[146:147], s[10:11], -v[154:155]
	v_add_f64 v[142:143], v[142:143], v[208:209]
	v_fma_f64 v[152:153], v[152:153], s[10:11], -v[162:163]
	v_add_f64 v[126:127], v[140:141], v[126:127]
	v_fmac_f64_e32 v[154:155], s[10:11], v[146:147]
	v_add_f64 v[124:125], v[204:205], v[124:125]
	v_add_f64 v[10:11], v[10:11], v[46:47]
	;; [unrolled: 1-line block ×3, first 2 shown]
	v_fmac_f64_e32 v[196:197], s[18:19], v[170:171]
	v_mul_f64 v[184:185], v[184:185], s[8:9]
	v_fma_f64 v[198:199], s[12:13], v[166:167], v[178:179]
	v_add_f64 v[144:145], v[200:201], v[144:145]
	v_mul_f64 v[172:173], v[172:173], s[36:37]
	v_fma_f64 v[200:201], v[148:149], s[30:31], -v[158:159]
	v_add_f64 v[142:143], v[202:203], v[142:143]
	v_fma_f64 v[156:157], v[156:157], s[30:31], -v[168:169]
	v_add_f64 v[126:127], v[152:153], v[126:127]
	v_fmac_f64_e32 v[158:159], s[30:31], v[148:149]
	v_add_f64 v[124:125], v[154:155], v[124:125]
	v_add_f64 v[10:11], v[10:11], v[34:35]
	;; [unrolled: 1-line block ×4, first 2 shown]
	v_mul_f64 v[186:187], v[186:187], s[28:29]
	v_fma_f64 v[196:197], s[2:3], v[174:175], v[184:185]
	v_add_f64 v[144:145], v[198:199], v[144:145]
	v_mul_f64 v[176:177], v[176:177], s[8:9]
	v_fma_f64 v[198:199], v[160:161], s[12:13], -v[172:173]
	v_add_f64 v[142:143], v[200:201], v[142:143]
	v_fma_f64 v[166:167], v[166:167], s[12:13], -v[178:179]
	v_add_f64 v[126:127], v[156:157], v[126:127]
	v_fmac_f64_e32 v[172:173], s[12:13], v[160:161]
	v_add_f64 v[124:125], v[158:159], v[124:125]
	v_add_f64 v[10:11], v[10:11], v[30:31]
	;; [unrolled: 1-line block ×3, first 2 shown]
	v_fma_f64 v[194:195], s[20:21], v[180:181], v[186:187]
	v_add_f64 v[144:145], v[196:197], v[144:145]
	v_mul_f64 v[182:183], v[182:183], s[28:29]
	v_fma_f64 v[196:197], v[164:165], s[2:3], -v[176:177]
	v_add_f64 v[142:143], v[198:199], v[142:143]
	v_fma_f64 v[174:175], v[174:175], s[2:3], -v[184:185]
	v_add_f64 v[126:127], v[166:167], v[126:127]
	v_fmac_f64_e32 v[176:177], s[2:3], v[164:165]
	v_add_f64 v[124:125], v[172:173], v[124:125]
	v_add_f64 v[10:11], v[10:11], v[26:27]
	;; [unrolled: 1-line block ×4, first 2 shown]
	v_fma_f64 v[194:195], v[170:171], s[20:21], -v[182:183]
	v_add_f64 v[142:143], v[196:197], v[142:143]
	v_fma_f64 v[180:181], v[180:181], s[20:21], -v[186:187]
	v_add_f64 v[126:127], v[174:175], v[126:127]
	v_fmac_f64_e32 v[182:183], s[20:21], v[170:171]
	v_add_f64 v[124:125], v[176:177], v[124:125]
	v_add_f64 v[6:7], v[10:11], v[6:7]
	;; [unrolled: 1-line block ×3, first 2 shown]
	v_lshl_add_u32 v8, v122, 8, v188
	v_add_f64 v[142:143], v[194:195], v[142:143]
	v_add_f64 v[126:127], v[180:181], v[126:127]
	;; [unrolled: 1-line block ×3, first 2 shown]
	ds_write_b128 v8, v[4:7]
	ds_write_b128 v8, v[124:127] offset:16
	ds_write_b128 v8, v[190:193] offset:32
	;; [unrolled: 1-line block ×16, first 2 shown]
.LBB0_13:
	s_or_b64 exec, exec, s[16:17]
	s_movk_i32 s2, 0xf1
	v_mul_lo_u16_sdwa v4, v122, s2 dst_sel:DWORD dst_unused:UNUSED_PAD src0_sel:BYTE_0 src1_sel:DWORD
	v_lshrrev_b16_e32 v98, 12, v4
	v_mul_lo_u16_e32 v4, 17, v98
	v_sub_u16_e32 v99, v122, v4
	v_mov_b32_e32 v4, 9
	v_mul_u32_u24_sdwa v4, v99, v4 dst_sel:DWORD dst_unused:UNUSED_PAD src0_sel:BYTE_0 src1_sel:DWORD
	v_lshlrev_b32_e32 v36, 4, v4
	s_waitcnt lgkmcnt(0)
	s_barrier
	global_load_dwordx4 v[4:7], v36, s[4:5]
	global_load_dwordx4 v[8:11], v36, s[4:5] offset:16
	global_load_dwordx4 v[12:15], v36, s[4:5] offset:32
	;; [unrolled: 1-line block ×8, first 2 shown]
	ds_read_b128 v[36:39], v188
	ds_read_b128 v[44:47], v188 offset:2992
	ds_read_b128 v[48:51], v188 offset:5984
	;; [unrolled: 1-line block ×9, first 2 shown]
	s_mov_b32 s12, 0x134454ff
	s_mov_b32 s13, 0xbfee6f0e
	;; [unrolled: 1-line block ×12, first 2 shown]
	s_waitcnt lgkmcnt(0)
	s_barrier
	s_waitcnt vmcnt(8)
	v_mul_f64 v[80:81], v[46:47], v[6:7]
	v_mul_f64 v[6:7], v[44:45], v[6:7]
	s_waitcnt vmcnt(7)
	v_mul_f64 v[82:83], v[50:51], v[10:11]
	s_waitcnt vmcnt(5)
	v_mul_f64 v[86:87], v[58:59], v[18:19]
	v_mul_f64 v[10:11], v[48:49], v[10:11]
	s_waitcnt vmcnt(3)
	v_mul_f64 v[90:91], v[66:67], v[26:27]
	v_mul_f64 v[18:19], v[56:57], v[18:19]
	;; [unrolled: 1-line block ×4, first 2 shown]
	s_waitcnt vmcnt(1)
	v_mul_f64 v[94:95], v[74:75], v[34:35]
	v_mul_f64 v[34:35], v[72:73], v[34:35]
	v_fmac_f64_e32 v[86:87], v[56:57], v[16:17]
	v_fmac_f64_e32 v[90:91], v[64:65], v[24:25]
	v_mul_f64 v[84:85], v[54:55], v[14:15]
	v_mul_f64 v[14:15], v[52:53], v[14:15]
	;; [unrolled: 1-line block ×5, first 2 shown]
	v_fmac_f64_e32 v[80:81], v[44:45], v[4:5]
	v_fma_f64 v[44:45], v[46:47], v[4:5], -v[6:7]
	v_fmac_f64_e32 v[82:83], v[48:49], v[8:9]
	v_fma_f64 v[4:5], v[50:51], v[8:9], -v[10:11]
	v_fma_f64 v[8:9], v[58:59], v[16:17], -v[18:19]
	;; [unrolled: 1-line block ×3, first 2 shown]
	v_fmac_f64_e32 v[94:95], v[72:73], v[32:33]
	v_fma_f64 v[16:17], v[74:75], v[32:33], -v[34:35]
	v_add_f64 v[22:23], v[86:87], v[90:91]
	v_fmac_f64_e32 v[84:85], v[52:53], v[12:13]
	v_fma_f64 v[6:7], v[54:55], v[12:13], -v[14:15]
	v_fmac_f64_e32 v[88:89], v[60:61], v[20:21]
	v_fma_f64 v[12:13], v[66:67], v[24:25], -v[26:27]
	;; [unrolled: 2-line block ×3, first 2 shown]
	v_add_f64 v[20:21], v[36:37], v[82:83]
	v_add_f64 v[24:25], v[4:5], -v[16:17]
	v_add_f64 v[28:29], v[82:83], -v[86:87]
	v_add_f64 v[30:31], v[94:95], -v[90:91]
	v_fma_f64 v[34:35], -0.5, v[22:23], v[36:37]
	v_add_f64 v[26:27], v[8:9], -v[12:13]
	v_add_f64 v[32:33], v[82:83], v[94:95]
	v_add_f64 v[20:21], v[20:21], v[86:87]
	;; [unrolled: 1-line block ×3, first 2 shown]
	v_fma_f64 v[28:29], s[12:13], v[24:25], v[34:35]
	v_fmac_f64_e32 v[34:35], s[6:7], v[24:25]
	v_add_f64 v[20:21], v[20:21], v[90:91]
	v_fmac_f64_e32 v[28:29], s[10:11], v[26:27]
	v_fmac_f64_e32 v[34:35], s[2:3], v[26:27]
	v_fmac_f64_e32 v[36:37], -0.5, v[32:33]
	v_add_f64 v[30:31], v[20:21], v[94:95]
	v_fmac_f64_e32 v[28:29], s[8:9], v[22:23]
	v_fmac_f64_e32 v[34:35], s[8:9], v[22:23]
	v_fma_f64 v[32:33], s[6:7], v[26:27], v[36:37]
	v_add_f64 v[20:21], v[86:87], -v[82:83]
	v_add_f64 v[22:23], v[90:91], -v[94:95]
	v_fmac_f64_e32 v[36:37], s[12:13], v[26:27]
	v_fmac_f64_e32 v[32:33], s[10:11], v[24:25]
	v_add_f64 v[20:21], v[20:21], v[22:23]
	v_fmac_f64_e32 v[36:37], s[2:3], v[24:25]
	v_fmac_f64_e32 v[32:33], s[8:9], v[20:21]
	;; [unrolled: 1-line block ×3, first 2 shown]
	v_add_f64 v[20:21], v[38:39], v[4:5]
	v_add_f64 v[20:21], v[20:21], v[8:9]
	;; [unrolled: 1-line block ×3, first 2 shown]
	s_waitcnt vmcnt(0)
	v_mul_f64 v[96:97], v[78:79], v[42:43]
	v_mul_f64 v[42:43], v[76:77], v[42:43]
	v_add_f64 v[26:27], v[20:21], v[16:17]
	v_add_f64 v[20:21], v[8:9], v[12:13]
	v_fma_f64 v[18:19], v[78:79], v[40:41], -v[42:43]
	v_fma_f64 v[42:43], -0.5, v[20:21], v[38:39]
	v_add_f64 v[20:21], v[82:83], -v[94:95]
	v_fmac_f64_e32 v[96:97], v[76:77], v[40:41]
	v_fma_f64 v[46:47], s[6:7], v[20:21], v[42:43]
	v_add_f64 v[22:23], v[86:87], -v[90:91]
	v_add_f64 v[24:25], v[4:5], -v[8:9]
	;; [unrolled: 1-line block ×3, first 2 shown]
	v_fmac_f64_e32 v[42:43], s[12:13], v[20:21]
	v_fmac_f64_e32 v[46:47], s[2:3], v[22:23]
	v_add_f64 v[24:25], v[24:25], v[40:41]
	v_fmac_f64_e32 v[42:43], s[10:11], v[22:23]
	v_fmac_f64_e32 v[46:47], s[8:9], v[24:25]
	v_fmac_f64_e32 v[42:43], s[8:9], v[24:25]
	v_add_f64 v[24:25], v[4:5], v[16:17]
	v_fmac_f64_e32 v[38:39], -0.5, v[24:25]
	v_fma_f64 v[48:49], s[12:13], v[22:23], v[38:39]
	v_add_f64 v[4:5], v[8:9], -v[4:5]
	v_add_f64 v[8:9], v[12:13], -v[16:17]
	v_fmac_f64_e32 v[38:39], s[6:7], v[22:23]
	v_fmac_f64_e32 v[48:49], s[2:3], v[20:21]
	v_add_f64 v[4:5], v[4:5], v[8:9]
	v_fmac_f64_e32 v[38:39], s[10:11], v[20:21]
	v_fmac_f64_e32 v[48:49], s[8:9], v[4:5]
	;; [unrolled: 1-line block ×3, first 2 shown]
	v_add_f64 v[4:5], v[80:81], v[84:85]
	v_add_f64 v[4:5], v[4:5], v[88:89]
	;; [unrolled: 1-line block ×5, first 2 shown]
	v_fma_f64 v[22:23], -0.5, v[4:5], v[80:81]
	v_add_f64 v[4:5], v[6:7], -v[18:19]
	v_fma_f64 v[40:41], s[12:13], v[4:5], v[22:23]
	v_add_f64 v[8:9], v[10:11], -v[14:15]
	v_add_f64 v[12:13], v[84:85], -v[88:89]
	;; [unrolled: 1-line block ×3, first 2 shown]
	v_fmac_f64_e32 v[22:23], s[6:7], v[4:5]
	v_fmac_f64_e32 v[40:41], s[10:11], v[8:9]
	v_add_f64 v[12:13], v[12:13], v[16:17]
	v_fmac_f64_e32 v[22:23], s[2:3], v[8:9]
	v_fmac_f64_e32 v[40:41], s[8:9], v[12:13]
	;; [unrolled: 1-line block ×3, first 2 shown]
	v_add_f64 v[12:13], v[84:85], v[96:97]
	v_fmac_f64_e32 v[80:81], -0.5, v[12:13]
	v_fma_f64 v[50:51], s[6:7], v[8:9], v[80:81]
	v_fmac_f64_e32 v[80:81], s[12:13], v[8:9]
	v_fmac_f64_e32 v[50:51], s[10:11], v[4:5]
	;; [unrolled: 1-line block ×3, first 2 shown]
	v_add_f64 v[4:5], v[44:45], v[6:7]
	v_add_f64 v[4:5], v[4:5], v[10:11]
	;; [unrolled: 1-line block ×3, first 2 shown]
	v_add_f64 v[12:13], v[88:89], -v[84:85]
	v_add_f64 v[16:17], v[92:93], -v[96:97]
	v_add_f64 v[52:53], v[4:5], v[18:19]
	v_add_f64 v[4:5], v[10:11], v[14:15]
	;; [unrolled: 1-line block ×3, first 2 shown]
	v_fma_f64 v[54:55], -0.5, v[4:5], v[44:45]
	v_add_f64 v[4:5], v[84:85], -v[96:97]
	v_fmac_f64_e32 v[50:51], s[8:9], v[12:13]
	v_fmac_f64_e32 v[80:81], s[8:9], v[12:13]
	v_fma_f64 v[56:57], s[6:7], v[4:5], v[54:55]
	v_add_f64 v[8:9], v[88:89], -v[92:93]
	v_add_f64 v[12:13], v[6:7], -v[10:11]
	;; [unrolled: 1-line block ×3, first 2 shown]
	v_fmac_f64_e32 v[54:55], s[12:13], v[4:5]
	v_fmac_f64_e32 v[56:57], s[2:3], v[8:9]
	v_add_f64 v[12:13], v[12:13], v[16:17]
	v_fmac_f64_e32 v[54:55], s[10:11], v[8:9]
	v_fmac_f64_e32 v[56:57], s[8:9], v[12:13]
	;; [unrolled: 1-line block ×3, first 2 shown]
	v_add_f64 v[12:13], v[6:7], v[18:19]
	v_fmac_f64_e32 v[44:45], -0.5, v[12:13]
	v_fma_f64 v[58:59], s[12:13], v[8:9], v[44:45]
	v_add_f64 v[6:7], v[10:11], -v[6:7]
	v_add_f64 v[10:11], v[14:15], -v[18:19]
	v_fmac_f64_e32 v[44:45], s[6:7], v[8:9]
	v_fmac_f64_e32 v[58:59], s[2:3], v[4:5]
	v_add_f64 v[6:7], v[6:7], v[10:11]
	v_fmac_f64_e32 v[44:45], s[10:11], v[4:5]
	v_fmac_f64_e32 v[58:59], s[8:9], v[6:7]
	;; [unrolled: 1-line block ×3, first 2 shown]
	v_mul_f64 v[62:63], v[58:59], s[12:13]
	v_mul_f64 v[64:65], v[44:45], s[12:13]
	s_mov_b32 s13, 0xbfd3c6ef
	s_mov_b32 s12, s8
	v_mul_f64 v[44:45], v[44:45], s[12:13]
	v_mul_f64 v[60:61], v[56:57], s[10:11]
	;; [unrolled: 1-line block ×3, first 2 shown]
	s_mov_b32 s11, 0xbfe9e377
	s_mov_b32 s10, s14
	v_mul_f64 v[58:59], v[58:59], s[8:9]
	v_fmac_f64_e32 v[44:45], s[6:7], v[80:81]
	v_fmac_f64_e32 v[62:63], s[8:9], v[50:51]
	v_mul_f64 v[56:57], v[56:57], s[14:15]
	v_fmac_f64_e32 v[58:59], s[6:7], v[50:51]
	v_add_f64 v[18:19], v[38:39], v[44:45]
	v_mul_f64 v[50:51], v[54:55], s[10:11]
	v_add_f64 v[38:39], v[38:39], -v[44:45]
	v_mov_b32_e32 v45, 4
	v_fmac_f64_e32 v[60:61], s[14:15], v[40:41]
	v_fmac_f64_e32 v[64:65], s[12:13], v[80:81]
	;; [unrolled: 1-line block ×5, first 2 shown]
	v_mul_u32_u24_e32 v44, 0xaa0, v98
	v_lshlrev_b32_sdwa v45, v45, v99 dst_sel:DWORD dst_unused:UNUSED_PAD src0_sel:DWORD src1_sel:BYTE_0
	s_movk_i32 s2, 0xaa
	v_add_f64 v[4:5], v[30:31], v[24:25]
	v_add_f64 v[8:9], v[28:29], v[60:61]
	;; [unrolled: 1-line block ×9, first 2 shown]
	v_add_f64 v[24:25], v[30:31], -v[24:25]
	v_add_f64 v[28:29], v[28:29], -v[60:61]
	;; [unrolled: 1-line block ×9, first 2 shown]
	v_add3_u32 v44, 0, v44, v45
	v_cmp_gt_u32_e32 vcc, s2, v122
	ds_write_b128 v44, v[4:7]
	ds_write_b128 v44, v[8:11] offset:272
	ds_write_b128 v44, v[12:15] offset:544
	;; [unrolled: 1-line block ×9, first 2 shown]
	s_waitcnt lgkmcnt(0)
	s_barrier
	s_and_saveexec_b64 s[2:3], vcc
	s_cbranch_execz .LBB0_15
; %bb.14:
	ds_read_b128 v[4:7], v188
	ds_read_b128 v[8:11], v188 offset:2720
	ds_read_b128 v[12:15], v188 offset:5440
	;; [unrolled: 1-line block ×10, first 2 shown]
.LBB0_15:
	s_or_b64 exec, exec, s[2:3]
	s_waitcnt lgkmcnt(0)
	s_barrier
	s_and_saveexec_b64 s[2:3], vcc
	s_cbranch_execz .LBB0_17
; %bb.16:
	v_add_u32_e32 v44, 0xffffff56, v122
	v_cndmask_b32_e32 v44, v44, v122, vcc
	v_mul_i32_i24_e32 v44, 10, v44
	v_mov_b32_e32 v45, 0
	v_lshl_add_u64 v[44:45], v[44:45], 4, s[4:5]
	global_load_dwordx4 v[64:67], v[44:45], off offset:2512
	global_load_dwordx4 v[68:71], v[44:45], off offset:2528
	;; [unrolled: 1-line block ×10, first 2 shown]
	s_mov_b32 s20, 0xfd768dbf
	s_mov_b32 s24, 0xf8bb580b
	;; [unrolled: 1-line block ×26, first 2 shown]
	s_waitcnt vmcnt(9)
	v_mul_f64 v[44:45], v[26:27], v[66:67]
	s_waitcnt vmcnt(8)
	v_mul_f64 v[46:47], v[30:31], v[70:71]
	;; [unrolled: 2-line block ×4, first 2 shown]
	v_mul_f64 v[78:79], v[32:33], v[78:79]
	s_waitcnt vmcnt(4)
	v_mul_f64 v[52:53], v[38:39], v[86:87]
	v_mul_f64 v[86:87], v[36:37], v[86:87]
	s_waitcnt vmcnt(3)
	v_mul_f64 v[60:61], v[14:15], v[90:91]
	s_waitcnt vmcnt(1)
	;; [unrolled: 2-line block ×3, first 2 shown]
	v_mul_f64 v[58:59], v[2:3], v[102:103]
	v_mul_f64 v[54:55], v[42:43], v[94:95]
	;; [unrolled: 1-line block ×4, first 2 shown]
	v_fmac_f64_e32 v[62:63], v[8:9], v[96:97]
	v_fmac_f64_e32 v[58:59], v[0:1], v[100:101]
	v_mul_f64 v[0:1], v[0:1], v[102:103]
	v_mul_f64 v[66:67], v[24:25], v[66:67]
	;; [unrolled: 1-line block ×6, first 2 shown]
	v_fmac_f64_e32 v[46:47], v[28:29], v[68:69]
	v_fmac_f64_e32 v[50:51], v[20:21], v[72:73]
	v_fma_f64 v[20:21], v[34:35], v[76:77], -v[78:79]
	v_fmac_f64_e32 v[52:53], v[36:37], v[84:85]
	v_fma_f64 v[28:29], v[38:39], v[84:85], -v[86:87]
	v_fmac_f64_e32 v[60:61], v[12:13], v[88:89]
	v_fmac_f64_e32 v[54:55], v[40:41], v[92:93]
	v_fma_f64 v[34:35], v[14:15], v[88:89], -v[90:91]
	v_fma_f64 v[36:37], v[10:11], v[96:97], -v[98:99]
	v_add_f64 v[88:89], v[62:63], -v[58:59]
	v_fma_f64 v[38:39], v[2:3], v[100:101], -v[0:1]
	v_mul_f64 v[82:83], v[16:17], v[82:83]
	v_fmac_f64_e32 v[44:45], v[24:25], v[64:65]
	v_fma_f64 v[24:25], v[26:27], v[64:65], -v[66:67]
	v_fma_f64 v[26:27], v[30:31], v[68:69], -v[70:71]
	v_fmac_f64_e32 v[56:57], v[16:17], v[80:81]
	v_fma_f64 v[30:31], v[42:43], v[92:93], -v[94:95]
	v_add_f64 v[86:87], v[60:61], -v[54:55]
	v_mul_f64 v[16:17], v[88:89], s[20:21]
	v_add_f64 v[68:69], v[36:37], v[38:39]
	v_fmac_f64_e32 v[48:49], v[32:33], v[76:77]
	v_fma_f64 v[32:33], v[18:19], v[80:81], -v[82:83]
	v_add_f64 v[84:85], v[56:57], -v[52:53]
	v_add_f64 v[66:67], v[34:35], v[30:31]
	v_mul_f64 v[14:15], v[86:87], s[24:25]
	v_fma_f64 v[0:1], s[22:23], v[68:69], v[16:17]
	v_fma_f64 v[16:17], v[68:69], s[22:23], -v[16:17]
	v_fma_f64 v[22:23], v[22:23], v[72:73], -v[74:75]
	v_add_f64 v[82:83], v[50:51], -v[48:49]
	v_add_f64 v[64:65], v[32:33], v[28:29]
	v_mul_f64 v[12:13], v[84:85], s[18:19]
	v_fma_f64 v[74:75], s[16:17], v[66:67], v[14:15]
	v_fma_f64 v[14:15], v[66:67], s[16:17], -v[14:15]
	v_add_f64 v[16:17], v[6:7], v[16:17]
	v_add_f64 v[80:81], v[44:45], -v[46:47]
	v_add_f64 v[42:43], v[22:23], v[20:21]
	v_mul_f64 v[10:11], v[82:83], s[12:13]
	v_fma_f64 v[72:73], s[14:15], v[64:65], v[12:13]
	v_add_f64 v[98:99], v[36:37], -v[38:39]
	v_fma_f64 v[12:13], v[64:65], s[14:15], -v[12:13]
	v_add_f64 v[14:15], v[14:15], v[16:17]
	v_add_f64 v[40:41], v[24:25], v[26:27]
	v_mul_f64 v[8:9], v[80:81], s[8:9]
	v_fma_f64 v[70:71], s[10:11], v[42:43], v[10:11]
	v_add_f64 v[0:1], v[6:7], v[0:1]
	v_add_f64 v[96:97], v[34:35], -v[30:31]
	v_add_f64 v[78:79], v[62:63], v[58:59]
	v_mul_f64 v[112:113], v[98:99], s[20:21]
	v_fma_f64 v[10:11], v[42:43], s[10:11], -v[10:11]
	v_add_f64 v[12:13], v[12:13], v[14:15]
	v_fma_f64 v[18:19], s[6:7], v[40:41], v[8:9]
	v_add_f64 v[0:1], v[74:75], v[0:1]
	v_add_f64 v[94:95], v[32:33], -v[28:29]
	v_add_f64 v[76:77], v[60:61], v[54:55]
	v_mul_f64 v[108:109], v[96:97], s[24:25]
	v_fma_f64 v[114:115], v[78:79], s[22:23], -v[112:113]
	v_fma_f64 v[8:9], v[40:41], s[6:7], -v[8:9]
	v_add_f64 v[10:11], v[10:11], v[12:13]
	v_fmac_f64_e32 v[112:113], s[22:23], v[78:79]
	v_add_f64 v[0:1], v[72:73], v[0:1]
	v_add_f64 v[92:93], v[22:23], -v[20:21]
	v_add_f64 v[74:75], v[56:57], v[52:53]
	v_mul_f64 v[104:105], v[94:95], s[18:19]
	v_fma_f64 v[110:111], v[76:77], s[16:17], -v[108:109]
	v_add_f64 v[114:115], v[4:5], v[114:115]
	v_add_f64 v[10:11], v[8:9], v[10:11]
	v_fmac_f64_e32 v[108:109], s[16:17], v[76:77]
	v_add_f64 v[8:9], v[4:5], v[112:113]
	v_add_f64 v[0:1], v[70:71], v[0:1]
	v_add_f64 v[90:91], v[24:25], -v[26:27]
	v_add_f64 v[72:73], v[50:51], v[48:49]
	v_mul_f64 v[100:101], v[92:93], s[12:13]
	v_fma_f64 v[106:107], v[74:75], s[14:15], -v[104:105]
	v_add_f64 v[110:111], v[110:111], v[114:115]
	v_fmac_f64_e32 v[104:105], s[14:15], v[74:75]
	v_add_f64 v[8:9], v[108:109], v[8:9]
	v_mul_f64 v[108:109], v[88:89], s[18:19]
	v_add_f64 v[2:3], v[18:19], v[0:1]
	v_add_f64 v[70:71], v[44:45], v[46:47]
	v_mul_f64 v[18:19], v[90:91], s[8:9]
	v_fma_f64 v[102:103], v[72:73], s[10:11], -v[100:101]
	v_add_f64 v[106:107], v[106:107], v[110:111]
	v_fmac_f64_e32 v[100:101], s[10:11], v[72:73]
	v_add_f64 v[8:9], v[104:105], v[8:9]
	v_mul_f64 v[104:105], v[86:87], s[28:29]
	v_fma_f64 v[110:111], s[14:15], v[68:69], v[108:109]
	v_fma_f64 v[108:109], v[68:69], s[14:15], -v[108:109]
	v_fma_f64 v[0:1], v[70:71], s[6:7], -v[18:19]
	v_add_f64 v[102:103], v[102:103], v[106:107]
	v_fmac_f64_e32 v[18:19], s[6:7], v[70:71]
	v_add_f64 v[8:9], v[100:101], v[8:9]
	v_mul_f64 v[100:101], v[84:85], s[26:27]
	v_fma_f64 v[106:107], s[6:7], v[66:67], v[104:105]
	v_fma_f64 v[104:105], v[66:67], s[6:7], -v[104:105]
	v_add_f64 v[108:109], v[6:7], v[108:109]
	v_add_f64 v[0:1], v[0:1], v[102:103]
	;; [unrolled: 1-line block ×3, first 2 shown]
	v_mul_f64 v[18:19], v[82:83], s[20:21]
	v_fma_f64 v[102:103], s[16:17], v[64:65], v[100:101]
	v_fma_f64 v[100:101], v[64:65], s[16:17], -v[100:101]
	v_add_f64 v[104:105], v[104:105], v[108:109]
	v_mul_f64 v[16:17], v[80:81], s[12:13]
	v_fma_f64 v[14:15], s[22:23], v[42:43], v[18:19]
	v_mul_f64 v[124:125], v[98:99], s[18:19]
	v_fma_f64 v[18:19], v[42:43], s[22:23], -v[18:19]
	v_add_f64 v[100:101], v[100:101], v[104:105]
	v_fma_f64 v[12:13], s[10:11], v[40:41], v[16:17]
	v_add_f64 v[110:111], v[6:7], v[110:111]
	v_mul_f64 v[116:117], v[96:97], s[28:29]
	v_fma_f64 v[126:127], v[78:79], s[14:15], -v[124:125]
	v_fma_f64 v[16:17], v[40:41], s[10:11], -v[16:17]
	v_add_f64 v[18:19], v[18:19], v[100:101]
	v_fmac_f64_e32 v[124:125], s[14:15], v[78:79]
	v_add_f64 v[106:107], v[106:107], v[110:111]
	v_mul_f64 v[112:113], v[94:95], s[26:27]
	v_fma_f64 v[118:119], v[76:77], s[6:7], -v[116:117]
	v_add_f64 v[126:127], v[4:5], v[126:127]
	v_add_f64 v[18:19], v[16:17], v[18:19]
	v_fmac_f64_e32 v[116:117], s[6:7], v[76:77]
	v_add_f64 v[16:17], v[4:5], v[124:125]
	v_add_f64 v[102:103], v[102:103], v[106:107]
	v_mul_f64 v[106:107], v[92:93], s[20:21]
	v_fma_f64 v[114:115], v[74:75], s[16:17], -v[112:113]
	v_add_f64 v[118:119], v[118:119], v[126:127]
	v_fmac_f64_e32 v[112:113], s[16:17], v[74:75]
	v_add_f64 v[16:17], v[116:117], v[16:17]
	v_mul_f64 v[116:117], v[88:89], s[8:9]
	v_add_f64 v[14:15], v[14:15], v[102:103]
	v_mul_f64 v[102:103], v[90:91], s[12:13]
	v_fma_f64 v[110:111], v[72:73], s[22:23], -v[106:107]
	v_add_f64 v[114:115], v[114:115], v[118:119]
	v_add_f64 v[16:17], v[112:113], v[16:17]
	v_mul_f64 v[112:113], v[86:87], s[30:31]
	v_fma_f64 v[118:119], s[6:7], v[68:69], v[116:117]
	v_fma_f64 v[116:117], v[68:69], s[6:7], -v[116:117]
	v_add_f64 v[14:15], v[12:13], v[14:15]
	v_fma_f64 v[12:13], v[70:71], s[10:11], -v[102:103]
	v_add_f64 v[110:111], v[110:111], v[114:115]
	v_fmac_f64_e32 v[106:107], s[22:23], v[72:73]
	v_mul_f64 v[108:109], v[84:85], s[12:13]
	v_fma_f64 v[114:115], s[22:23], v[66:67], v[112:113]
	v_fma_f64 v[112:113], v[66:67], s[22:23], -v[112:113]
	v_add_f64 v[116:117], v[6:7], v[116:117]
	v_add_f64 v[12:13], v[12:13], v[110:111]
	v_fmac_f64_e32 v[102:103], s[10:11], v[70:71]
	v_add_f64 v[16:17], v[106:107], v[16:17]
	v_mul_f64 v[106:107], v[82:83], s[26:27]
	v_fma_f64 v[110:111], s[10:11], v[64:65], v[108:109]
	v_fma_f64 v[108:109], v[64:65], s[10:11], -v[108:109]
	v_add_f64 v[112:113], v[112:113], v[116:117]
	v_add_f64 v[16:17], v[102:103], v[16:17]
	v_mul_f64 v[104:105], v[80:81], s[18:19]
	v_fma_f64 v[102:103], s[16:17], v[42:43], v[106:107]
	v_mul_f64 v[132:133], v[98:99], s[8:9]
	v_fma_f64 v[106:107], v[42:43], s[16:17], -v[106:107]
	v_add_f64 v[108:109], v[108:109], v[112:113]
	v_fma_f64 v[100:101], s[14:15], v[40:41], v[104:105]
	v_add_f64 v[118:119], v[6:7], v[118:119]
	v_mul_f64 v[128:129], v[96:97], s[30:31]
	v_fma_f64 v[134:135], v[78:79], s[6:7], -v[132:133]
	v_fma_f64 v[104:105], v[40:41], s[14:15], -v[104:105]
	v_add_f64 v[106:107], v[106:107], v[108:109]
	v_fmac_f64_e32 v[132:133], s[6:7], v[78:79]
	v_add_f64 v[114:115], v[114:115], v[118:119]
	v_mul_f64 v[124:125], v[94:95], s[12:13]
	v_fma_f64 v[130:131], v[76:77], s[22:23], -v[128:129]
	v_add_f64 v[134:135], v[4:5], v[134:135]
	v_add_f64 v[106:107], v[104:105], v[106:107]
	v_fmac_f64_e32 v[128:129], s[22:23], v[76:77]
	v_add_f64 v[104:105], v[4:5], v[132:133]
	s_mov_b32 s13, 0xbfed1bb4
	v_add_f64 v[110:111], v[110:111], v[114:115]
	v_mul_f64 v[114:115], v[92:93], s[26:27]
	v_fma_f64 v[126:127], v[74:75], s[10:11], -v[124:125]
	v_add_f64 v[130:131], v[130:131], v[134:135]
	v_fmac_f64_e32 v[124:125], s[10:11], v[74:75]
	v_add_f64 v[104:105], v[128:129], v[104:105]
	v_mul_f64 v[128:129], v[88:89], s[12:13]
	v_add_f64 v[102:103], v[102:103], v[110:111]
	v_mul_f64 v[110:111], v[90:91], s[18:19]
	v_fma_f64 v[118:119], v[72:73], s[16:17], -v[114:115]
	v_add_f64 v[126:127], v[126:127], v[130:131]
	v_add_f64 v[104:105], v[124:125], v[104:105]
	v_mul_f64 v[124:125], v[86:87], s[18:19]
	v_fma_f64 v[130:131], s[10:11], v[68:69], v[128:129]
	v_fma_f64 v[128:129], v[68:69], s[10:11], -v[128:129]
	v_add_f64 v[102:103], v[100:101], v[102:103]
	v_fma_f64 v[100:101], v[70:71], s[14:15], -v[110:111]
	v_add_f64 v[118:119], v[118:119], v[126:127]
	v_fmac_f64_e32 v[114:115], s[16:17], v[72:73]
	v_mul_f64 v[116:117], v[84:85], s[30:31]
	v_fma_f64 v[126:127], s[14:15], v[66:67], v[124:125]
	v_fma_f64 v[124:125], v[66:67], s[14:15], -v[124:125]
	v_add_f64 v[128:129], v[6:7], v[128:129]
	v_add_f64 v[100:101], v[100:101], v[118:119]
	v_fmac_f64_e32 v[110:111], s[14:15], v[70:71]
	v_add_f64 v[104:105], v[114:115], v[104:105]
	v_mul_f64 v[114:115], v[82:83], s[28:29]
	v_fma_f64 v[118:119], s[22:23], v[64:65], v[116:117]
	v_fma_f64 v[116:117], v[64:65], s[22:23], -v[116:117]
	v_add_f64 v[124:125], v[124:125], v[128:129]
	v_add_f64 v[104:105], v[110:111], v[104:105]
	v_mul_f64 v[112:113], v[80:81], s[24:25]
	v_fma_f64 v[110:111], s[6:7], v[42:43], v[114:115]
	v_mul_f64 v[140:141], v[98:99], s[12:13]
	v_fma_f64 v[114:115], v[42:43], s[6:7], -v[114:115]
	v_add_f64 v[116:117], v[116:117], v[124:125]
	v_fma_f64 v[108:109], s[16:17], v[40:41], v[112:113]
	v_add_f64 v[130:131], v[6:7], v[130:131]
	v_mul_f64 v[136:137], v[96:97], s[18:19]
	v_fma_f64 v[142:143], v[78:79], s[10:11], -v[140:141]
	v_fma_f64 v[112:113], v[40:41], s[16:17], -v[112:113]
	v_add_f64 v[114:115], v[114:115], v[116:117]
	v_fmac_f64_e32 v[140:141], s[10:11], v[78:79]
	v_add_f64 v[126:127], v[126:127], v[130:131]
	v_mul_f64 v[132:133], v[94:95], s[30:31]
	v_fma_f64 v[138:139], v[76:77], s[14:15], -v[136:137]
	v_add_f64 v[114:115], v[112:113], v[114:115]
	v_fmac_f64_e32 v[136:137], s[14:15], v[76:77]
	v_add_f64 v[112:113], v[4:5], v[140:141]
	v_add_f64 v[118:119], v[118:119], v[126:127]
	v_mul_f64 v[126:127], v[92:93], s[28:29]
	v_fma_f64 v[134:135], v[74:75], s[22:23], -v[132:133]
	v_fmac_f64_e32 v[132:133], s[22:23], v[74:75]
	v_add_f64 v[112:113], v[136:137], v[112:113]
	v_mul_f64 v[88:89], v[88:89], s[26:27]
	v_add_f64 v[110:111], v[110:111], v[118:119]
	v_mul_f64 v[118:119], v[90:91], s[24:25]
	v_fma_f64 v[130:131], v[72:73], s[6:7], -v[126:127]
	v_add_f64 v[142:143], v[4:5], v[142:143]
	v_fmac_f64_e32 v[126:127], s[6:7], v[72:73]
	v_add_f64 v[112:113], v[132:133], v[112:113]
	v_mul_f64 v[86:87], v[86:87], s[12:13]
	v_fma_f64 v[128:129], s[16:17], v[68:69], v[88:89]
	v_fma_f64 v[68:69], v[68:69], s[16:17], -v[88:89]
	v_add_f64 v[110:111], v[108:109], v[110:111]
	v_fma_f64 v[108:109], v[70:71], s[16:17], -v[118:119]
	v_add_f64 v[138:139], v[138:139], v[142:143]
	v_fmac_f64_e32 v[118:119], s[16:17], v[70:71]
	v_add_f64 v[112:113], v[126:127], v[112:113]
	v_mul_f64 v[84:85], v[84:85], s[8:9]
	v_fma_f64 v[126:127], s[10:11], v[66:67], v[86:87]
	v_fma_f64 v[66:67], v[66:67], s[10:11], -v[86:87]
	v_add_f64 v[68:69], v[6:7], v[68:69]
	v_add_f64 v[134:135], v[134:135], v[138:139]
	;; [unrolled: 1-line block ×3, first 2 shown]
	v_mul_f64 v[118:119], v[82:83], s[18:19]
	v_fma_f64 v[124:125], s[6:7], v[64:65], v[84:85]
	v_fma_f64 v[64:65], v[64:65], s[6:7], -v[84:85]
	v_add_f64 v[66:67], v[66:67], v[68:69]
	v_add_f64 v[130:131], v[130:131], v[134:135]
	v_mul_f64 v[116:117], v[80:81], s[20:21]
	v_fma_f64 v[82:83], s[14:15], v[42:43], v[118:119]
	v_mul_f64 v[98:99], v[98:99], s[26:27]
	v_fma_f64 v[42:43], v[42:43], s[14:15], -v[118:119]
	v_add_f64 v[64:65], v[64:65], v[66:67]
	v_add_f64 v[108:109], v[108:109], v[130:131]
	v_fma_f64 v[80:81], s[22:23], v[40:41], v[116:117]
	v_fma_f64 v[130:131], v[78:79], s[16:17], -v[98:99]
	v_fma_f64 v[40:41], v[40:41], s[22:23], -v[116:117]
	v_add_f64 v[42:43], v[42:43], v[64:65]
	v_fmac_f64_e32 v[98:99], s[16:17], v[78:79]
	v_add_f64 v[128:129], v[6:7], v[128:129]
	v_add_f64 v[130:131], v[4:5], v[130:131]
	;; [unrolled: 1-line block ×14, first 2 shown]
	v_mul_f64 v[96:97], v[96:97], s[12:13]
	v_add_f64 v[6:7], v[6:7], v[26:27]
	v_add_f64 v[4:5], v[4:5], v[46:47]
	;; [unrolled: 1-line block ×3, first 2 shown]
	v_mul_f64 v[94:95], v[94:95], s[8:9]
	v_fma_f64 v[128:129], v[76:77], s[10:11], -v[96:97]
	v_fmac_f64_e32 v[96:97], s[10:11], v[76:77]
	v_add_f64 v[6:7], v[6:7], v[20:21]
	v_add_f64 v[4:5], v[4:5], v[48:49]
	;; [unrolled: 1-line block ×3, first 2 shown]
	v_mul_f64 v[92:93], v[92:93], s[18:19]
	v_fma_f64 v[126:127], v[74:75], s[6:7], -v[94:95]
	v_add_f64 v[128:129], v[128:129], v[130:131]
	v_fmac_f64_e32 v[94:95], s[6:7], v[74:75]
	v_add_f64 v[40:41], v[96:97], v[40:41]
	v_add_f64 v[6:7], v[6:7], v[28:29]
	;; [unrolled: 1-line block ×4, first 2 shown]
	v_mul_f64 v[90:91], v[90:91], s[20:21]
	v_fma_f64 v[124:125], v[72:73], s[14:15], -v[92:93]
	v_add_f64 v[126:127], v[126:127], v[128:129]
	v_fmac_f64_e32 v[92:93], s[14:15], v[72:73]
	v_add_f64 v[40:41], v[94:95], v[40:41]
	v_add_f64 v[6:7], v[6:7], v[30:31]
	;; [unrolled: 1-line block ×4, first 2 shown]
	v_fma_f64 v[80:81], v[70:71], s[22:23], -v[90:91]
	v_add_f64 v[124:125], v[124:125], v[126:127]
	v_fmac_f64_e32 v[90:91], s[22:23], v[70:71]
	v_add_f64 v[40:41], v[92:93], v[40:41]
	v_add_f64 v[6:7], v[6:7], v[38:39]
	;; [unrolled: 1-line block ×5, first 2 shown]
	ds_write_b128 v188, v[4:7]
	ds_write_b128 v188, v[40:43] offset:2720
	ds_write_b128 v188, v[112:115] offset:5440
	;; [unrolled: 1-line block ×10, first 2 shown]
.LBB0_17:
	s_or_b64 exec, exec, s[2:3]
	s_waitcnt lgkmcnt(0)
	s_barrier
	ds_read_b128 v[4:7], v188
	s_add_u32 s2, s4, 0x73d0
	v_lshlrev_b32_e32 v0, 4, v122
	s_addc_u32 s3, s5, 0
	v_sub_u32_e32 v14, 0, v0
	v_cmp_ne_u32_e32 vcc, 0, v122
                                        ; implicit-def: $vgpr0_vgpr1
                                        ; implicit-def: $vgpr10_vgpr11
                                        ; implicit-def: $vgpr12_vgpr13
                                        ; implicit-def: $vgpr8_vgpr9
	s_and_saveexec_b64 s[4:5], vcc
	s_xor_b64 s[4:5], exec, s[4:5]
	s_cbranch_execz .LBB0_19
; %bb.18:
	v_mov_b32_e32 v123, 0
	v_lshl_add_u64 v[0:1], v[122:123], 4, s[2:3]
	global_load_dwordx4 v[0:3], v[0:1], off
	ds_read_b128 v[8:11], v14 offset:29920
	s_waitcnt lgkmcnt(0)
	v_add_f64 v[16:17], v[4:5], v[8:9]
	v_add_f64 v[4:5], v[4:5], -v[8:9]
	v_add_f64 v[12:13], v[6:7], v[10:11]
	v_add_f64 v[6:7], v[6:7], -v[10:11]
	v_mul_f64 v[4:5], v[4:5], 0.5
	v_mul_f64 v[8:9], v[12:13], 0.5
	;; [unrolled: 1-line block ×3, first 2 shown]
	s_waitcnt vmcnt(0)
	v_mul_f64 v[18:19], v[4:5], v[2:3]
	v_fma_f64 v[12:13], v[8:9], v[2:3], v[6:7]
	v_fma_f64 v[2:3], v[8:9], v[2:3], -v[6:7]
	v_fma_f64 v[10:11], 0.5, v[16:17], v[18:19]
	v_fma_f64 v[6:7], v[16:17], 0.5, -v[18:19]
	v_fma_f64 v[12:13], -v[0:1], v[4:5], v[12:13]
	v_fma_f64 v[2:3], -v[0:1], v[4:5], v[2:3]
	v_fmac_f64_e32 v[10:11], v[8:9], v[0:1]
	v_fma_f64 v[0:1], -v[8:9], v[0:1], v[6:7]
	v_mov_b64_e32 v[8:9], v[122:123]
                                        ; implicit-def: $vgpr4_vgpr5
.LBB0_19:
	s_andn2_saveexec_b64 s[4:5], s[4:5]
	s_cbranch_execz .LBB0_21
; %bb.20:
	v_mov_b32_e32 v15, 0
	ds_read_b64 v[2:3], v15 offset:14968
	v_mov_b64_e32 v[12:13], 0
	s_waitcnt lgkmcnt(1)
	v_add_f64 v[10:11], v[4:5], v[6:7]
	v_add_f64 v[0:1], v[4:5], -v[6:7]
	v_mov_b64_e32 v[8:9], 0
	s_waitcnt lgkmcnt(0)
	v_xor_b32_e32 v3, 0x80000000, v3
	ds_write_b64 v15, v[2:3] offset:14968
	v_mov_b64_e32 v[2:3], v[12:13]
.LBB0_21:
	s_or_b64 exec, exec, s[4:5]
	v_lshl_add_u64 v[20:21], v[8:9], 4, s[2:3]
	s_waitcnt lgkmcnt(0)
	global_load_dwordx4 v[4:7], v[20:21], off offset:2992
	s_movk_i32 s2, 0x1000
	v_add_co_u32_e32 v16, vcc, s2, v20
	s_movk_i32 s2, 0x2000
	s_nop 0
	v_addc_co_u32_e32 v17, vcc, 0, v21, vcc
	global_load_dwordx4 v[16:19], v[16:17], off offset:1888
	v_add_co_u32_e32 v24, vcc, s2, v20
	v_add_u32_e32 v15, 0x800, v188
	s_nop 0
	v_addc_co_u32_e32 v25, vcc, 0, v21, vcc
	global_load_dwordx4 v[20:23], v[24:25], off offset:784
	ds_write2_b64 v188, v[10:11], v[12:13] offset1:1
	ds_write_b128 v14, v[0:3] offset:29920
	ds_read_b128 v[0:3], v188 offset:2992
	ds_read_b128 v[10:13], v14 offset:26928
	global_load_dwordx4 v[24:27], v[24:25], off offset:3776
	s_waitcnt lgkmcnt(0)
	v_add_f64 v[28:29], v[0:1], v[10:11]
	v_add_f64 v[0:1], v[0:1], -v[10:11]
	v_add_f64 v[30:31], v[2:3], v[12:13]
	v_add_f64 v[2:3], v[2:3], -v[12:13]
	v_mul_f64 v[0:1], v[0:1], 0.5
	v_mul_f64 v[10:11], v[30:31], 0.5
	;; [unrolled: 1-line block ×3, first 2 shown]
	s_waitcnt vmcnt(3)
	v_mul_f64 v[12:13], v[0:1], v[6:7]
	v_fma_f64 v[30:31], v[10:11], v[6:7], v[2:3]
	v_fma_f64 v[2:3], v[10:11], v[6:7], -v[2:3]
	v_fma_f64 v[6:7], 0.5, v[28:29], v[12:13]
	v_fma_f64 v[30:31], -v[4:5], v[0:1], v[30:31]
	v_fma_f64 v[12:13], v[28:29], 0.5, -v[12:13]
	v_fmac_f64_e32 v[6:7], v[10:11], v[4:5]
	v_fma_f64 v[2:3], -v[4:5], v[0:1], v[2:3]
	v_fma_f64 v[0:1], -v[10:11], v[4:5], v[12:13]
	ds_write2_b64 v15, v[6:7], v[30:31] offset0:118 offset1:119
	ds_write_b128 v14, v[0:3] offset:26928
	ds_read_b128 v[0:3], v188 offset:5984
	ds_read_b128 v[4:7], v14 offset:23936
	v_add_u32_e32 v15, 0x1000, v188
	s_waitcnt lgkmcnt(0)
	v_add_f64 v[10:11], v[0:1], v[4:5]
	v_add_f64 v[0:1], v[0:1], -v[4:5]
	v_add_f64 v[12:13], v[2:3], v[6:7]
	v_add_f64 v[2:3], v[2:3], -v[6:7]
	v_mul_f64 v[0:1], v[0:1], 0.5
	v_mul_f64 v[4:5], v[12:13], 0.5
	;; [unrolled: 1-line block ×3, first 2 shown]
	s_waitcnt vmcnt(2)
	v_mul_f64 v[6:7], v[0:1], v[18:19]
	v_fma_f64 v[12:13], v[4:5], v[18:19], v[2:3]
	v_fma_f64 v[2:3], v[4:5], v[18:19], -v[2:3]
	v_fma_f64 v[18:19], 0.5, v[10:11], v[6:7]
	v_fma_f64 v[12:13], -v[16:17], v[0:1], v[12:13]
	v_fma_f64 v[6:7], v[10:11], 0.5, -v[6:7]
	v_fmac_f64_e32 v[18:19], v[4:5], v[16:17]
	v_fma_f64 v[2:3], -v[16:17], v[0:1], v[2:3]
	v_fma_f64 v[0:1], -v[4:5], v[16:17], v[6:7]
	ds_write2_b64 v15, v[18:19], v[12:13] offset0:236 offset1:237
	ds_write_b128 v14, v[0:3] offset:23936
	ds_read_b128 v[0:3], v188 offset:8976
	ds_read_b128 v[4:7], v14 offset:20944
	v_add_u32_e32 v15, 0x2000, v188
	s_waitcnt lgkmcnt(0)
	v_add_f64 v[10:11], v[0:1], v[4:5]
	v_add_f64 v[0:1], v[0:1], -v[4:5]
	v_add_f64 v[12:13], v[2:3], v[6:7]
	v_add_f64 v[2:3], v[2:3], -v[6:7]
	v_mul_f64 v[0:1], v[0:1], 0.5
	v_mul_f64 v[4:5], v[12:13], 0.5
	;; [unrolled: 1-line block ×3, first 2 shown]
	s_waitcnt vmcnt(1)
	v_mul_f64 v[6:7], v[0:1], v[22:23]
	v_fma_f64 v[12:13], v[4:5], v[22:23], v[2:3]
	v_fma_f64 v[16:17], 0.5, v[10:11], v[6:7]
	v_fma_f64 v[2:3], v[4:5], v[22:23], -v[2:3]
	v_fma_f64 v[12:13], -v[20:21], v[0:1], v[12:13]
	v_fma_f64 v[6:7], v[10:11], 0.5, -v[6:7]
	v_fmac_f64_e32 v[16:17], v[4:5], v[20:21]
	v_fma_f64 v[2:3], -v[20:21], v[0:1], v[2:3]
	v_fma_f64 v[0:1], -v[4:5], v[20:21], v[6:7]
	ds_write2_b64 v15, v[16:17], v[12:13] offset0:98 offset1:99
	ds_write_b128 v14, v[0:3] offset:20944
	ds_read_b128 v[0:3], v188 offset:11968
	ds_read_b128 v[4:7], v14 offset:17952
	v_add_u32_e32 v15, 0x2800, v188
	s_waitcnt lgkmcnt(0)
	v_add_f64 v[10:11], v[0:1], v[4:5]
	v_add_f64 v[0:1], v[0:1], -v[4:5]
	v_add_f64 v[12:13], v[2:3], v[6:7]
	v_add_f64 v[2:3], v[2:3], -v[6:7]
	v_mul_f64 v[0:1], v[0:1], 0.5
	v_mul_f64 v[4:5], v[12:13], 0.5
	;; [unrolled: 1-line block ×3, first 2 shown]
	s_waitcnt vmcnt(0)
	v_mul_f64 v[6:7], v[0:1], v[26:27]
	v_fma_f64 v[12:13], v[4:5], v[26:27], v[2:3]
	v_fma_f64 v[16:17], 0.5, v[10:11], v[6:7]
	v_fma_f64 v[2:3], v[4:5], v[26:27], -v[2:3]
	v_fma_f64 v[12:13], -v[24:25], v[0:1], v[12:13]
	v_fma_f64 v[6:7], v[10:11], 0.5, -v[6:7]
	v_fmac_f64_e32 v[16:17], v[4:5], v[24:25]
	v_fma_f64 v[2:3], -v[24:25], v[0:1], v[2:3]
	v_fma_f64 v[0:1], -v[4:5], v[24:25], v[6:7]
	ds_write2_b64 v15, v[16:17], v[12:13] offset0:216 offset1:217
	ds_write_b128 v14, v[0:3] offset:17952
	s_waitcnt lgkmcnt(0)
	s_barrier
	s_and_saveexec_b64 s[2:3], s[0:1]
	s_cbranch_execz .LBB0_24
; %bb.22:
	ds_read_b128 v[0:3], v188
	ds_read_b128 v[4:7], v188 offset:2992
	v_lshl_add_u64 v[12:13], v[8:9], 4, v[120:121]
	ds_read_b128 v[8:11], v188 offset:5984
	s_movk_i32 s0, 0xba
	s_waitcnt lgkmcnt(2)
	global_store_dwordx4 v[12:13], v[0:3], off
	s_waitcnt lgkmcnt(1)
	global_store_dwordx4 v[12:13], v[4:7], off offset:2992
	ds_read_b128 v[0:3], v188 offset:8976
	s_nop 0
	v_add_co_u32_e32 v4, vcc, 0x1000, v12
	s_nop 1
	v_addc_co_u32_e32 v5, vcc, 0, v13, vcc
	s_waitcnt lgkmcnt(1)
	global_store_dwordx4 v[4:5], v[8:11], off offset:1888
	ds_read_b128 v[4:7], v188 offset:11968
	s_nop 0
	v_add_co_u32_e32 v8, vcc, 0x2000, v12
	s_nop 1
	v_addc_co_u32_e32 v9, vcc, 0, v13, vcc
	s_waitcnt lgkmcnt(1)
	global_store_dwordx4 v[8:9], v[0:3], off offset:784
	ds_read_b128 v[0:3], v188 offset:14960
	s_waitcnt lgkmcnt(1)
	global_store_dwordx4 v[8:9], v[4:7], off offset:3776
	s_nop 1
	v_add_co_u32_e32 v4, vcc, 0x3000, v12
	s_nop 1
	v_addc_co_u32_e32 v5, vcc, 0, v13, vcc
	s_waitcnt lgkmcnt(0)
	global_store_dwordx4 v[4:5], v[0:3], off offset:2672
	ds_read_b128 v[0:3], v188 offset:17952
	ds_read_b128 v[4:7], v188 offset:20944
	v_add_co_u32_e32 v8, vcc, 0x4000, v12
	s_nop 1
	v_addc_co_u32_e32 v9, vcc, 0, v13, vcc
	s_waitcnt lgkmcnt(1)
	global_store_dwordx4 v[8:9], v[0:3], off offset:1568
	ds_read_b128 v[0:3], v188 offset:23936
	v_add_co_u32_e32 v8, vcc, 0x5000, v12
	s_nop 1
	v_addc_co_u32_e32 v9, vcc, 0, v13, vcc
	s_waitcnt lgkmcnt(1)
	global_store_dwordx4 v[8:9], v[4:7], off offset:464
	ds_read_b128 v[4:7], v188 offset:26928
	s_waitcnt lgkmcnt(1)
	global_store_dwordx4 v[8:9], v[0:3], off offset:3456
	s_nop 1
	v_add_co_u32_e32 v0, vcc, 0x6000, v12
	s_nop 1
	v_addc_co_u32_e32 v1, vcc, 0, v13, vcc
	v_cmp_eq_u32_e32 vcc, s0, v122
	s_waitcnt lgkmcnt(0)
	global_store_dwordx4 v[0:1], v[4:7], off offset:2352
	s_and_b64 exec, exec, vcc
	s_cbranch_execz .LBB0_24
; %bb.23:
	v_mov_b32_e32 v0, 0
	ds_read_b128 v[0:3], v0 offset:29920
	v_add_co_u32_e32 v4, vcc, 0x7000, v120
	s_nop 1
	v_addc_co_u32_e32 v5, vcc, 0, v121, vcc
	s_waitcnt lgkmcnt(0)
	global_store_dwordx4 v[4:5], v[0:3], off offset:1248
.LBB0_24:
	s_endpgm
	.section	.rodata,"a",@progbits
	.p2align	6, 0x0
	.amdhsa_kernel fft_rtc_back_len1870_factors_17_10_11_wgs_187_tpt_187_halfLds_dp_ip_CI_unitstride_sbrr_R2C_dirReg
		.amdhsa_group_segment_fixed_size 0
		.amdhsa_private_segment_fixed_size 0
		.amdhsa_kernarg_size 88
		.amdhsa_user_sgpr_count 2
		.amdhsa_user_sgpr_dispatch_ptr 0
		.amdhsa_user_sgpr_queue_ptr 0
		.amdhsa_user_sgpr_kernarg_segment_ptr 1
		.amdhsa_user_sgpr_dispatch_id 0
		.amdhsa_user_sgpr_kernarg_preload_length 0
		.amdhsa_user_sgpr_kernarg_preload_offset 0
		.amdhsa_user_sgpr_private_segment_size 0
		.amdhsa_uses_dynamic_stack 0
		.amdhsa_enable_private_segment 0
		.amdhsa_system_sgpr_workgroup_id_x 1
		.amdhsa_system_sgpr_workgroup_id_y 0
		.amdhsa_system_sgpr_workgroup_id_z 0
		.amdhsa_system_sgpr_workgroup_info 0
		.amdhsa_system_vgpr_workitem_id 0
		.amdhsa_next_free_vgpr 252
		.amdhsa_next_free_sgpr 54
		.amdhsa_accum_offset 252
		.amdhsa_reserve_vcc 1
		.amdhsa_float_round_mode_32 0
		.amdhsa_float_round_mode_16_64 0
		.amdhsa_float_denorm_mode_32 3
		.amdhsa_float_denorm_mode_16_64 3
		.amdhsa_dx10_clamp 1
		.amdhsa_ieee_mode 1
		.amdhsa_fp16_overflow 0
		.amdhsa_tg_split 0
		.amdhsa_exception_fp_ieee_invalid_op 0
		.amdhsa_exception_fp_denorm_src 0
		.amdhsa_exception_fp_ieee_div_zero 0
		.amdhsa_exception_fp_ieee_overflow 0
		.amdhsa_exception_fp_ieee_underflow 0
		.amdhsa_exception_fp_ieee_inexact 0
		.amdhsa_exception_int_div_zero 0
	.end_amdhsa_kernel
	.text
.Lfunc_end0:
	.size	fft_rtc_back_len1870_factors_17_10_11_wgs_187_tpt_187_halfLds_dp_ip_CI_unitstride_sbrr_R2C_dirReg, .Lfunc_end0-fft_rtc_back_len1870_factors_17_10_11_wgs_187_tpt_187_halfLds_dp_ip_CI_unitstride_sbrr_R2C_dirReg
                                        ; -- End function
	.section	.AMDGPU.csdata,"",@progbits
; Kernel info:
; codeLenInByte = 13956
; NumSgprs: 60
; NumVgprs: 252
; NumAgprs: 0
; TotalNumVgprs: 252
; ScratchSize: 0
; MemoryBound: 0
; FloatMode: 240
; IeeeMode: 1
; LDSByteSize: 0 bytes/workgroup (compile time only)
; SGPRBlocks: 7
; VGPRBlocks: 31
; NumSGPRsForWavesPerEU: 60
; NumVGPRsForWavesPerEU: 252
; AccumOffset: 252
; Occupancy: 2
; WaveLimiterHint : 1
; COMPUTE_PGM_RSRC2:SCRATCH_EN: 0
; COMPUTE_PGM_RSRC2:USER_SGPR: 2
; COMPUTE_PGM_RSRC2:TRAP_HANDLER: 0
; COMPUTE_PGM_RSRC2:TGID_X_EN: 1
; COMPUTE_PGM_RSRC2:TGID_Y_EN: 0
; COMPUTE_PGM_RSRC2:TGID_Z_EN: 0
; COMPUTE_PGM_RSRC2:TIDIG_COMP_CNT: 0
; COMPUTE_PGM_RSRC3_GFX90A:ACCUM_OFFSET: 62
; COMPUTE_PGM_RSRC3_GFX90A:TG_SPLIT: 0
	.text
	.p2alignl 6, 3212836864
	.fill 256, 4, 3212836864
	.type	__hip_cuid_433ccf16d931fd06,@object ; @__hip_cuid_433ccf16d931fd06
	.section	.bss,"aw",@nobits
	.globl	__hip_cuid_433ccf16d931fd06
__hip_cuid_433ccf16d931fd06:
	.byte	0                               ; 0x0
	.size	__hip_cuid_433ccf16d931fd06, 1

	.ident	"AMD clang version 19.0.0git (https://github.com/RadeonOpenCompute/llvm-project roc-6.4.0 25133 c7fe45cf4b819c5991fe208aaa96edf142730f1d)"
	.section	".note.GNU-stack","",@progbits
	.addrsig
	.addrsig_sym __hip_cuid_433ccf16d931fd06
	.amdgpu_metadata
---
amdhsa.kernels:
  - .agpr_count:     0
    .args:
      - .actual_access:  read_only
        .address_space:  global
        .offset:         0
        .size:           8
        .value_kind:     global_buffer
      - .offset:         8
        .size:           8
        .value_kind:     by_value
      - .actual_access:  read_only
        .address_space:  global
        .offset:         16
        .size:           8
        .value_kind:     global_buffer
      - .actual_access:  read_only
        .address_space:  global
        .offset:         24
        .size:           8
        .value_kind:     global_buffer
      - .offset:         32
        .size:           8
        .value_kind:     by_value
      - .actual_access:  read_only
        .address_space:  global
        .offset:         40
        .size:           8
        .value_kind:     global_buffer
      - .actual_access:  read_only
        .address_space:  global
        .offset:         48
        .size:           8
        .value_kind:     global_buffer
      - .offset:         56
        .size:           4
        .value_kind:     by_value
      - .actual_access:  read_only
        .address_space:  global
        .offset:         64
        .size:           8
        .value_kind:     global_buffer
      - .actual_access:  read_only
        .address_space:  global
        .offset:         72
        .size:           8
        .value_kind:     global_buffer
      - .address_space:  global
        .offset:         80
        .size:           8
        .value_kind:     global_buffer
    .group_segment_fixed_size: 0
    .kernarg_segment_align: 8
    .kernarg_segment_size: 88
    .language:       OpenCL C
    .language_version:
      - 2
      - 0
    .max_flat_workgroup_size: 187
    .name:           fft_rtc_back_len1870_factors_17_10_11_wgs_187_tpt_187_halfLds_dp_ip_CI_unitstride_sbrr_R2C_dirReg
    .private_segment_fixed_size: 0
    .sgpr_count:     60
    .sgpr_spill_count: 0
    .symbol:         fft_rtc_back_len1870_factors_17_10_11_wgs_187_tpt_187_halfLds_dp_ip_CI_unitstride_sbrr_R2C_dirReg.kd
    .uniform_work_group_size: 1
    .uses_dynamic_stack: false
    .vgpr_count:     252
    .vgpr_spill_count: 0
    .wavefront_size: 64
amdhsa.target:   amdgcn-amd-amdhsa--gfx950
amdhsa.version:
  - 1
  - 2
...

	.end_amdgpu_metadata
